;; amdgpu-corpus repo=ROCm/rocFFT kind=compiled arch=gfx1030 opt=O3
	.text
	.amdgcn_target "amdgcn-amd-amdhsa--gfx1030"
	.amdhsa_code_object_version 6
	.protected	bluestein_single_back_len765_dim1_dp_op_CI_CI ; -- Begin function bluestein_single_back_len765_dim1_dp_op_CI_CI
	.globl	bluestein_single_back_len765_dim1_dp_op_CI_CI
	.p2align	8
	.type	bluestein_single_back_len765_dim1_dp_op_CI_CI,@function
bluestein_single_back_len765_dim1_dp_op_CI_CI: ; @bluestein_single_back_len765_dim1_dp_op_CI_CI
; %bb.0:
	s_mov_b64 s[62:63], s[2:3]
	s_mov_b64 s[60:61], s[0:1]
	s_load_dwordx4 s[0:3], s[4:5], 0x28
	v_mul_u32_u24_e32 v1, 0x506, v0
	s_add_u32 s60, s60, s7
	s_addc_u32 s61, s61, 0
	v_lshrrev_b32_e32 v1, 16, v1
	v_mad_u64_u32 v[196:197], null, s6, 5, v[1:2]
	v_mov_b32_e32 v197, 0
                                        ; kill: def $vgpr2 killed $sgpr0 killed $exec
	s_waitcnt lgkmcnt(0)
	v_cmp_gt_u64_e32 vcc_lo, s[0:1], v[196:197]
	s_and_saveexec_b32 s0, vcc_lo
	s_cbranch_execz .LBB0_15
; %bb.1:
	v_mul_hi_u32 v2, 0xcccccccd, v196
	s_clause 0x1
	s_load_dwordx2 s[12:13], s[4:5], 0x0
	s_load_dwordx2 s[14:15], s[4:5], 0x38
	v_mul_lo_u16 v1, v1, 51
	v_sub_nc_u16 v0, v0, v1
	v_lshrrev_b32_e32 v2, 2, v2
	v_and_b32_e32 v224, 0xffff, v0
	v_lshl_add_u32 v2, v2, 2, v2
	v_cmp_gt_u16_e32 vcc_lo, 45, v0
	v_lshlrev_b32_e32 v234, 4, v224
	v_sub_nc_u32_e32 v1, v196, v2
	v_mul_u32_u24_e32 v232, 0x2fd, v1
	v_lshlrev_b32_e32 v221, 4, v232
	s_and_saveexec_b32 s1, vcc_lo
	s_cbranch_execz .LBB0_3
; %bb.2:
	s_load_dwordx2 s[6:7], s[4:5], 0x18
	s_waitcnt lgkmcnt(0)
	v_add_co_u32 v14, s0, s12, v234
	v_add_co_ci_u32_e64 v15, null, s13, 0, s0
	v_add_co_u32 v20, s0, 0x800, v14
	v_add_co_ci_u32_e64 v21, s0, 0, v15, s0
	v_add_co_u32 v32, s0, 0x1000, v14
	v_add_co_ci_u32_e64 v33, s0, 0, v15, s0
	;; [unrolled: 2-line block ×3, first 2 shown]
	v_add_co_u32 v56, s0, 0x2000, v14
	s_load_dwordx4 s[8:11], s[6:7], 0x0
	v_add_co_ci_u32_e64 v57, s0, 0, v15, s0
	v_add_co_u32 v128, s0, 0x2800, v14
	v_add_co_ci_u32_e64 v129, s0, 0, v15, s0
	s_clause 0x2
	global_load_dwordx4 v[0:3], v234, s[12:13]
	global_load_dwordx4 v[4:7], v234, s[12:13] offset:720
	global_load_dwordx4 v[8:11], v234, s[12:13] offset:1440
	s_waitcnt lgkmcnt(0)
	v_mad_u64_u32 v[36:37], null, s10, v196, 0
	v_mad_u64_u32 v[44:45], null, s8, v224, 0
	s_mul_i32 s6, s9, 0x2d0
	s_mul_hi_u32 s7, s8, 0x2d0
	s_add_i32 s7, s7, s6
	v_mov_b32_e32 v12, v37
	v_mov_b32_e32 v13, v45
	v_mad_u64_u32 v[24:25], null, s11, v196, v[12:13]
	v_mad_u64_u32 v[38:39], null, s9, v224, v[13:14]
	s_clause 0x2
	global_load_dwordx4 v[12:15], v[20:21], off offset:112
	global_load_dwordx4 v[16:19], v[20:21], off offset:832
	;; [unrolled: 1-line block ×3, first 2 shown]
	v_mov_b32_e32 v37, v24
	s_clause 0x2
	global_load_dwordx4 v[24:27], v[32:33], off offset:224
	global_load_dwordx4 v[28:31], v[32:33], off offset:944
	;; [unrolled: 1-line block ×3, first 2 shown]
	v_mov_b32_e32 v45, v38
	v_lshlrev_b64 v[48:49], 4, v[36:37]
	s_clause 0x1
	global_load_dwordx4 v[36:39], v[46:47], off offset:336
	global_load_dwordx4 v[40:43], v[46:47], off offset:1056
	v_lshlrev_b64 v[44:45], 4, v[44:45]
	v_add_co_u32 v48, s0, s2, v48
	v_add_co_ci_u32_e64 v49, s0, s3, v49, s0
	s_mul_i32 s2, s8, 0x2d0
	v_add_co_u32 v60, s0, v48, v44
	v_add_co_ci_u32_e64 v61, s0, v49, v45, s0
	global_load_dwordx4 v[44:47], v[46:47], off offset:1776
	v_add_co_u32 v64, s0, v60, s2
	v_add_co_ci_u32_e64 v65, s0, s7, v61, s0
	s_clause 0x1
	global_load_dwordx4 v[48:51], v[56:57], off offset:448
	global_load_dwordx4 v[52:55], v[56:57], off offset:1168
	v_add_co_u32 v68, s0, v64, s2
	v_add_co_ci_u32_e64 v69, s0, s7, v65, s0
	global_load_dwordx4 v[56:59], v[56:57], off offset:1888
	v_add_co_u32 v72, s0, v68, s2
	v_add_co_ci_u32_e64 v73, s0, s7, v69, s0
	s_clause 0x1
	global_load_dwordx4 v[60:63], v[60:61], off
	global_load_dwordx4 v[64:67], v[64:65], off
	v_add_co_u32 v76, s0, v72, s2
	v_add_co_ci_u32_e64 v77, s0, s7, v73, s0
	s_clause 0x1
	global_load_dwordx4 v[68:71], v[68:69], off
	global_load_dwordx4 v[72:75], v[72:73], off
	v_add_co_u32 v80, s0, v76, s2
	v_add_co_ci_u32_e64 v81, s0, s7, v77, s0
	global_load_dwordx4 v[76:79], v[76:77], off
	v_add_co_u32 v84, s0, v80, s2
	v_add_co_ci_u32_e64 v85, s0, s7, v81, s0
	;; [unrolled: 3-line block ×11, first 2 shown]
	v_add_co_u32 v132, s0, v120, s2
	v_add_co_ci_u32_e64 v133, s0, s7, v121, s0
	global_load_dwordx4 v[116:119], v[116:117], off
	global_load_dwordx4 v[120:123], v[120:121], off
	s_clause 0x1
	global_load_dwordx4 v[124:127], v[128:129], off offset:560
	global_load_dwordx4 v[128:131], v[128:129], off offset:1280
	global_load_dwordx4 v[132:135], v[132:133], off
	s_waitcnt vmcnt(18)
	v_mul_f64 v[136:137], v[62:63], v[2:3]
	v_mul_f64 v[2:3], v[60:61], v[2:3]
	s_waitcnt vmcnt(17)
	v_mul_f64 v[138:139], v[66:67], v[6:7]
	v_mul_f64 v[6:7], v[64:65], v[6:7]
	;; [unrolled: 3-line block ×6, first 2 shown]
	v_fma_f64 v[60:61], v[60:61], v[0:1], v[136:137]
	v_fma_f64 v[62:63], v[62:63], v[0:1], -v[2:3]
	v_fma_f64 v[0:1], v[64:65], v[4:5], v[138:139]
	s_waitcnt vmcnt(12)
	v_mul_f64 v[64:65], v[86:87], v[26:27]
	v_mul_f64 v[26:27], v[84:85], v[26:27]
	v_fma_f64 v[2:3], v[66:67], v[4:5], -v[6:7]
	s_waitcnt vmcnt(11)
	v_mul_f64 v[66:67], v[90:91], v[30:31]
	v_mul_f64 v[30:31], v[88:89], v[30:31]
	v_fma_f64 v[4:5], v[68:69], v[8:9], v[140:141]
	s_waitcnt vmcnt(10)
	v_mul_f64 v[68:69], v[94:95], v[34:35]
	v_mul_f64 v[34:35], v[92:93], v[34:35]
	v_fma_f64 v[6:7], v[70:71], v[8:9], -v[10:11]
	v_fma_f64 v[8:9], v[72:73], v[12:13], v[142:143]
	v_fma_f64 v[10:11], v[74:75], v[12:13], -v[14:15]
	s_waitcnt vmcnt(9)
	v_mul_f64 v[70:71], v[98:99], v[38:39]
	v_mul_f64 v[38:39], v[96:97], v[38:39]
	v_fma_f64 v[12:13], v[76:77], v[16:17], v[144:145]
	v_fma_f64 v[14:15], v[78:79], v[16:17], -v[18:19]
	v_fma_f64 v[16:17], v[80:81], v[20:21], v[146:147]
	s_waitcnt vmcnt(8)
	v_mul_f64 v[72:73], v[102:103], v[42:43]
	v_mul_f64 v[42:43], v[100:101], v[42:43]
	v_fma_f64 v[18:19], v[82:83], v[20:21], -v[22:23]
	s_waitcnt vmcnt(7)
	v_mul_f64 v[74:75], v[106:107], v[46:47]
	v_mul_f64 v[46:47], v[104:105], v[46:47]
	v_fma_f64 v[20:21], v[84:85], v[24:25], v[64:65]
	v_fma_f64 v[22:23], v[86:87], v[24:25], -v[26:27]
	v_fma_f64 v[24:25], v[88:89], v[28:29], v[66:67]
	s_waitcnt vmcnt(6)
	v_mul_f64 v[76:77], v[110:111], v[50:51]
	v_mul_f64 v[50:51], v[108:109], v[50:51]
	v_fma_f64 v[26:27], v[90:91], v[28:29], -v[30:31]
	v_fma_f64 v[28:29], v[92:93], v[32:33], v[68:69]
	v_fma_f64 v[30:31], v[94:95], v[32:33], -v[34:35]
	s_waitcnt vmcnt(5)
	v_mul_f64 v[78:79], v[114:115], v[54:55]
	v_mul_f64 v[54:55], v[112:113], v[54:55]
	v_fma_f64 v[32:33], v[96:97], v[36:37], v[70:71]
	v_fma_f64 v[34:35], v[98:99], v[36:37], -v[38:39]
	v_lshl_add_u32 v68, v224, 4, v221
	v_add_nc_u32_e32 v69, v221, v234
	s_waitcnt vmcnt(4)
	v_mul_f64 v[80:81], v[118:119], v[58:59]
	v_mul_f64 v[58:59], v[116:117], v[58:59]
	s_waitcnt vmcnt(2)
	v_mul_f64 v[82:83], v[122:123], v[126:127]
	v_mul_f64 v[126:127], v[120:121], v[126:127]
	;; [unrolled: 3-line block ×3, first 2 shown]
	v_fma_f64 v[36:37], v[100:101], v[40:41], v[72:73]
	v_fma_f64 v[38:39], v[102:103], v[40:41], -v[42:43]
	v_fma_f64 v[40:41], v[104:105], v[44:45], v[74:75]
	v_fma_f64 v[42:43], v[106:107], v[44:45], -v[46:47]
	v_fma_f64 v[44:45], v[108:109], v[48:49], v[76:77]
	v_fma_f64 v[46:47], v[110:111], v[48:49], -v[50:51]
	v_fma_f64 v[48:49], v[112:113], v[52:53], v[78:79]
	v_fma_f64 v[50:51], v[114:115], v[52:53], -v[54:55]
	v_fma_f64 v[52:53], v[116:117], v[56:57], v[80:81]
	v_fma_f64 v[54:55], v[118:119], v[56:57], -v[58:59]
	v_fma_f64 v[56:57], v[120:121], v[124:125], v[82:83]
	v_fma_f64 v[58:59], v[122:123], v[124:125], -v[126:127]
	v_fma_f64 v[64:65], v[132:133], v[128:129], v[136:137]
	v_fma_f64 v[66:67], v[134:135], v[128:129], -v[130:131]
	ds_write_b128 v68, v[60:63]
	ds_write_b128 v69, v[0:3] offset:720
	ds_write_b128 v69, v[4:7] offset:1440
	;; [unrolled: 1-line block ×16, first 2 shown]
.LBB0_3:
	s_or_b32 exec_lo, exec_lo, s1
	s_clause 0x1
	s_load_dwordx2 s[0:1], s[4:5], 0x20
	s_load_dwordx2 s[2:3], s[4:5], 0x8
	s_waitcnt lgkmcnt(0)
	s_barrier
	buffer_gl0_inv
                                        ; implicit-def: $vgpr8_vgpr9
                                        ; implicit-def: $vgpr72_vgpr73
                                        ; implicit-def: $vgpr68_vgpr69
                                        ; implicit-def: $vgpr64_vgpr65
                                        ; implicit-def: $vgpr60_vgpr61
                                        ; implicit-def: $vgpr56_vgpr57
                                        ; implicit-def: $vgpr52_vgpr53
                                        ; implicit-def: $vgpr48_vgpr49
                                        ; implicit-def: $vgpr44_vgpr45
                                        ; implicit-def: $vgpr40_vgpr41
                                        ; implicit-def: $vgpr36_vgpr37
                                        ; implicit-def: $vgpr32_vgpr33
                                        ; implicit-def: $vgpr28_vgpr29
                                        ; implicit-def: $vgpr24_vgpr25
                                        ; implicit-def: $vgpr20_vgpr21
                                        ; implicit-def: $vgpr16_vgpr17
                                        ; implicit-def: $vgpr12_vgpr13
	s_and_saveexec_b32 s4, vcc_lo
	s_cbranch_execz .LBB0_5
; %bb.4:
	v_lshl_add_u32 v0, v232, 4, v234
	ds_read_b128 v[8:11], v0
	ds_read_b128 v[72:75], v0 offset:720
	ds_read_b128 v[68:71], v0 offset:1440
	;; [unrolled: 1-line block ×16, first 2 shown]
.LBB0_5:
	s_or_b32 exec_lo, exec_lo, s4
	s_waitcnt lgkmcnt(0)
	v_add_f64 v[178:179], v[74:75], -v[14:15]
	v_add_f64 v[186:187], v[72:73], -v[12:13]
	s_mov_b32 s8, 0x5d8e7cdc
	s_mov_b32 s4, 0x2a9d6da3
	;; [unrolled: 1-line block ×4, first 2 shown]
	v_add_f64 v[176:177], v[72:73], v[12:13]
	v_add_f64 v[182:183], v[74:75], v[14:15]
	v_add_f64 v[90:91], v[70:71], -v[18:19]
	v_add_f64 v[76:77], v[68:69], -v[16:17]
	s_mov_b32 s10, 0x370991
	s_mov_b32 s6, 0x75d4884
	;; [unrolled: 1-line block ×6, first 2 shown]
	v_add_f64 v[78:79], v[68:69], v[16:17]
	v_add_f64 v[94:95], v[70:71], v[18:19]
	v_add_f64 v[98:99], v[66:67], -v[22:23]
	v_add_f64 v[80:81], v[64:65], -v[20:21]
	s_mov_b32 s16, 0x3259b75e
	s_mov_b32 s18, 0x7c9e640b
	v_mul_f64 v[188:189], v[178:179], s[8:9]
	v_mul_f64 v[194:195], v[186:187], s[8:9]
	;; [unrolled: 1-line block ×4, first 2 shown]
	s_mov_b32 s20, 0x6c9a05f6
	s_mov_b32 s17, 0x3fb79ee6
	;; [unrolled: 1-line block ×4, first 2 shown]
	v_mul_f64 v[144:145], v[90:91], s[4:5]
	v_mul_f64 v[146:147], v[76:77], s[4:5]
	;; [unrolled: 1-line block ×4, first 2 shown]
	v_add_f64 v[82:83], v[64:65], v[20:21]
	v_add_f64 v[104:105], v[66:67], v[22:23]
	v_add_f64 v[84:85], v[60:61], -v[24:25]
	v_add_f64 v[114:115], v[62:63], -v[26:27]
	s_mov_b32 s24, 0x2b2883cd
	s_mov_b32 s22, 0x6ed5f1bb
	v_mul_f64 v[152:153], v[98:99], s[18:19]
	v_mul_f64 v[154:155], v[80:81], s[18:19]
	;; [unrolled: 1-line block ×4, first 2 shown]
	v_fma_f64 v[0:1], v[176:177], s[10:11], v[188:189]
	v_fma_f64 v[2:3], v[182:183], s[10:11], -v[194:195]
	v_fma_f64 v[4:5], v[176:177], s[6:7], v[199:200]
	v_fma_f64 v[6:7], v[182:183], s[6:7], -v[203:204]
	s_mov_b32 s26, 0xacd6c6b4
	s_mov_b32 s25, 0x3fdc86fa
	;; [unrolled: 1-line block ×4, first 2 shown]
	v_fma_f64 v[92:93], v[78:79], s[6:7], v[144:145]
	v_fma_f64 v[96:97], v[94:95], s[6:7], -v[146:147]
	v_fma_f64 v[100:101], v[78:79], s[16:17], v[128:129]
	v_fma_f64 v[102:103], v[94:95], s[16:17], -v[138:139]
	v_add_f64 v[86:87], v[60:61], v[24:25]
	v_add_f64 v[118:119], v[62:63], v[26:27]
	v_add_f64 v[88:89], v[56:57], -v[28:29]
	v_add_f64 v[122:123], v[58:59], -v[30:31]
	v_mul_f64 v[160:161], v[114:115], s[28:29]
	v_mul_f64 v[162:163], v[84:85], s[28:29]
	;; [unrolled: 1-line block ×4, first 2 shown]
	v_fma_f64 v[106:107], v[82:83], s[24:25], v[152:153]
	v_fma_f64 v[108:109], v[104:105], s[24:25], -v[154:155]
	v_add_f64 v[0:1], v[8:9], v[0:1]
	v_add_f64 v[2:3], v[10:11], v[2:3]
	;; [unrolled: 1-line block ×4, first 2 shown]
	v_fma_f64 v[110:111], v[82:83], s[22:23], v[134:135]
	v_fma_f64 v[112:113], v[104:105], s[22:23], -v[136:137]
	s_mov_b32 s34, 0x7faef3
	s_mov_b32 s38, 0x923c349f
	s_mov_b32 s30, 0x4363dd80
	s_mov_b32 s35, 0xbfef7484
	s_mov_b32 s39, 0xbfeec746
	s_mov_b32 s31, 0x3fe0d888
	v_add_f64 v[124:125], v[58:59], v[30:31]
	v_add_f64 v[126:127], v[54:55], -v[34:35]
	v_mul_f64 v[174:175], v[88:89], s[38:39]
	v_mul_f64 v[172:173], v[122:123], s[38:39]
	;; [unrolled: 1-line block ×4, first 2 shown]
	v_fma_f64 v[116:117], v[86:87], s[16:17], v[160:161]
	v_fma_f64 v[120:121], v[118:119], s[16:17], -v[162:163]
	v_fma_f64 v[132:133], v[86:87], s[34:35], v[140:141]
	v_fma_f64 v[164:165], v[118:119], s[34:35], -v[142:143]
	v_add_f64 v[0:1], v[92:93], v[0:1]
	v_add_f64 v[2:3], v[96:97], v[2:3]
	v_add_f64 v[4:5], v[100:101], v[4:5]
	v_add_f64 v[6:7], v[102:103], v[6:7]
	v_add_f64 v[92:93], v[56:57], v[28:29]
	v_add_f64 v[96:97], v[52:53], -v[32:33]
	s_mov_b32 s44, 0xc61f0d01
	s_mov_b32 s36, 0x910ea3b9
	;; [unrolled: 1-line block ×6, first 2 shown]
	v_add_f64 v[100:101], v[52:53], v[32:33]
	v_add_f64 v[130:131], v[54:55], v[34:35]
	v_add_f64 v[102:103], v[48:49], -v[36:37]
	v_mul_f64 v[180:181], v[126:127], s[20:21]
	v_mul_f64 v[156:157], v[126:127], s[48:49]
	v_fma_f64 v[168:169], v[124:125], s[44:45], -v[174:175]
	v_fma_f64 v[197:198], v[124:125], s[36:37], -v[150:151]
	s_mov_b32 s43, 0xbfe0d888
	s_mov_b32 s41, 0x3feca52d
	;; [unrolled: 1-line block ×3, first 2 shown]
	v_add_f64 v[0:1], v[106:107], v[0:1]
	v_add_f64 v[2:3], v[108:109], v[2:3]
	v_add_f64 v[4:5], v[110:111], v[4:5]
	v_add_f64 v[6:7], v[112:113], v[6:7]
	v_add_f64 v[110:111], v[50:51], -v[38:39]
	v_mul_f64 v[184:185], v[96:97], s[20:21]
	v_mul_f64 v[158:159], v[96:97], s[48:49]
	v_fma_f64 v[112:113], v[92:93], s[44:45], v[172:173]
	v_fma_f64 v[170:171], v[92:93], s[36:37], v[148:149]
	s_mov_b32 s40, s18
	v_add_f64 v[106:107], v[48:49], v[36:37]
	v_add_f64 v[108:109], v[44:45], -v[40:41]
	s_mov_b32 s47, 0x3fd71e95
	s_mov_b32 s46, s8
	v_mul_f64 v[192:193], v[102:103], s[42:43]
	v_mul_f64 v[166:167], v[102:103], s[40:41]
	v_fma_f64 v[205:206], v[100:101], s[22:23], v[180:181]
	v_fma_f64 v[209:210], v[100:101], s[44:45], v[156:157]
	s_barrier
	buffer_gl0_inv
	v_add_f64 v[0:1], v[116:117], v[0:1]
	v_add_f64 v[2:3], v[120:121], v[2:3]
	;; [unrolled: 1-line block ×5, first 2 shown]
	v_add_f64 v[116:117], v[46:47], -v[42:43]
	v_mul_f64 v[190:191], v[110:111], s[42:43]
	v_mul_f64 v[164:165], v[110:111], s[40:41]
	v_fma_f64 v[207:208], v[130:131], s[22:23], -v[184:185]
	v_fma_f64 v[211:212], v[130:131], s[44:45], -v[158:159]
	v_add_f64 v[120:121], v[46:47], v[42:43]
	v_mul_f64 v[201:202], v[108:109], s[26:27]
	v_add_f64 v[0:1], v[112:113], v[0:1]
	v_add_f64 v[2:3], v[168:169], v[2:3]
	v_add_f64 v[4:5], v[170:171], v[4:5]
	v_add_f64 v[6:7], v[197:198], v[6:7]
	v_add_f64 v[112:113], v[44:45], v[40:41]
	v_mul_f64 v[197:198], v[116:117], s[26:27]
	v_mul_f64 v[168:169], v[116:117], s[46:47]
	;; [unrolled: 1-line block ×3, first 2 shown]
	v_fma_f64 v[213:214], v[106:107], s[36:37], v[190:191]
	v_fma_f64 v[215:216], v[132:133], s[36:37], -v[192:193]
	v_fma_f64 v[217:218], v[106:107], s[24:25], v[164:165]
	v_fma_f64 v[219:220], v[132:133], s[24:25], -v[166:167]
	v_add_f64 v[0:1], v[205:206], v[0:1]
	v_add_f64 v[2:3], v[207:208], v[2:3]
	;; [unrolled: 1-line block ×4, first 2 shown]
	v_fma_f64 v[207:208], v[120:121], s[34:35], -v[201:202]
	v_fma_f64 v[205:206], v[112:113], s[34:35], v[197:198]
	v_fma_f64 v[209:210], v[112:113], s[10:11], v[168:169]
	v_fma_f64 v[211:212], v[120:121], s[10:11], -v[170:171]
	v_add_f64 v[0:1], v[213:214], v[0:1]
	v_add_f64 v[2:3], v[215:216], v[2:3]
	;; [unrolled: 1-line block ×8, first 2 shown]
	s_and_saveexec_b32 s33, vcc_lo
	s_cbranch_execz .LBB0_7
; %bb.6:
	v_add_f64 v[0:1], v[10:11], v[74:75]
	v_add_f64 v[2:3], v[8:9], v[72:73]
	s_mov_b32 s51, 0x3fe9895b
	s_mov_b32 s50, s20
	;; [unrolled: 1-line block ×4, first 2 shown]
	v_mul_f64 v[4:5], v[182:183], s[36:37]
	s_mov_b32 s53, 0x3fefdd0d
	s_mov_b32 s52, s28
	;; [unrolled: 1-line block ×4, first 2 shown]
	v_add_f64 v[0:1], v[0:1], v[70:71]
	v_add_f64 v[2:3], v[2:3], v[68:69]
	v_fma_f64 v[6:7], v[186:187], s[30:31], v[4:5]
	v_fma_f64 v[4:5], v[186:187], s[42:43], v[4:5]
	v_add_f64 v[0:1], v[0:1], v[66:67]
	v_add_f64 v[2:3], v[2:3], v[64:65]
	v_add_f64 v[6:7], v[10:11], v[6:7]
	v_add_f64 v[4:5], v[10:11], v[4:5]
	v_add_f64 v[0:1], v[0:1], v[62:63]
	v_add_f64 v[2:3], v[2:3], v[60:61]
	v_mul_f64 v[62:63], v[176:177], s[10:11]
	v_add_f64 v[0:1], v[0:1], v[58:59]
	v_add_f64 v[2:3], v[2:3], v[56:57]
	v_add_f64 v[62:63], v[62:63], -v[188:189]
	v_mul_f64 v[188:189], v[110:111], s[38:39]
	v_add_f64 v[0:1], v[0:1], v[54:55]
	v_add_f64 v[2:3], v[2:3], v[52:53]
	;; [unrolled: 1-line block ×4, first 2 shown]
	v_mul_f64 v[48:49], v[178:179], s[18:19]
	v_add_f64 v[0:1], v[0:1], v[46:47]
	v_add_f64 v[2:3], v[2:3], v[44:45]
	v_mul_f64 v[44:45], v[178:179], s[38:39]
	v_mul_f64 v[46:47], v[178:179], s[28:29]
	v_fma_f64 v[60:61], v[176:177], s[24:25], v[48:49]
	v_fma_f64 v[48:49], v[176:177], s[24:25], -v[48:49]
	v_add_f64 v[0:1], v[0:1], v[42:43]
	v_add_f64 v[2:3], v[2:3], v[40:41]
	v_fma_f64 v[56:57], v[176:177], s[44:45], v[44:45]
	v_fma_f64 v[44:45], v[176:177], s[44:45], -v[44:45]
	v_fma_f64 v[58:59], v[176:177], s[16:17], v[46:47]
	v_fma_f64 v[46:47], v[176:177], s[16:17], -v[46:47]
	v_add_f64 v[48:49], v[8:9], v[48:49]
	v_add_f64 v[0:1], v[0:1], v[38:39]
	;; [unrolled: 1-line block ×8, first 2 shown]
	v_mul_f64 v[32:33], v[178:179], s[42:43]
	v_mul_f64 v[34:35], v[178:179], s[20:21]
	v_add_f64 v[0:1], v[0:1], v[30:31]
	v_add_f64 v[2:3], v[2:3], v[28:29]
	v_mul_f64 v[28:29], v[182:183], s[24:25]
	v_fma_f64 v[52:53], v[176:177], s[36:37], v[32:33]
	v_fma_f64 v[32:33], v[176:177], s[36:37], -v[32:33]
	v_fma_f64 v[54:55], v[176:177], s[22:23], v[34:35]
	v_fma_f64 v[34:35], v[176:177], s[22:23], -v[34:35]
	v_add_f64 v[0:1], v[0:1], v[26:27]
	v_add_f64 v[2:3], v[2:3], v[24:25]
	v_fma_f64 v[30:31], v[186:187], s[40:41], v[28:29]
	v_fma_f64 v[36:37], v[186:187], s[18:19], v[28:29]
	v_mul_f64 v[28:29], v[182:183], s[6:7]
	v_mul_f64 v[24:25], v[182:183], s[16:17]
	v_add_f64 v[52:53], v[8:9], v[52:53]
	v_add_f64 v[66:67], v[8:9], v[32:33]
	;; [unrolled: 1-line block ×7, first 2 shown]
	v_mul_f64 v[20:21], v[182:183], s[44:45]
	v_add_f64 v[36:37], v[10:11], v[36:37]
	v_add_f64 v[38:39], v[203:204], v[28:29]
	v_mul_f64 v[28:29], v[176:177], s[6:7]
	v_fma_f64 v[26:27], v[186:187], s[52:53], v[24:25]
	v_fma_f64 v[24:25], v[186:187], s[28:29], v[24:25]
	v_add_f64 v[0:1], v[0:1], v[18:19]
	v_add_f64 v[2:3], v[2:3], v[16:17]
	v_mul_f64 v[16:17], v[182:183], s[22:23]
	v_fma_f64 v[22:23], v[186:187], s[48:49], v[20:21]
	v_fma_f64 v[20:21], v[186:187], s[38:39], v[20:21]
	v_add_f64 v[40:41], v[28:29], -v[199:200]
	v_mul_f64 v[28:29], v[182:183], s[10:11]
	v_add_f64 v[34:35], v[10:11], v[26:27]
	v_add_f64 v[58:59], v[10:11], v[24:25]
	;; [unrolled: 1-line block ×3, first 2 shown]
	v_mul_f64 v[24:25], v[118:119], s[6:7]
	v_mul_f64 v[26:27], v[114:115], s[56:57]
	v_add_f64 v[14:15], v[0:1], v[14:15]
	v_mul_f64 v[0:1], v[182:183], s[34:35]
	v_fma_f64 v[18:19], v[186:187], s[50:51], v[16:17]
	v_fma_f64 v[16:17], v[186:187], s[20:21], v[16:17]
	v_add_f64 v[12:13], v[2:3], v[12:13]
	v_add_f64 v[40:41], v[8:9], v[40:41]
	;; [unrolled: 1-line block ×3, first 2 shown]
	v_mul_f64 v[28:29], v[178:179], s[26:27]
	v_add_f64 v[74:75], v[10:11], v[22:23]
	v_mul_f64 v[22:23], v[98:99], s[42:43]
	v_mul_f64 v[178:179], v[130:131], s[24:25]
	v_mul_f64 v[182:183], v[126:127], s[40:41]
	v_mul_f64 v[194:195], v[120:121], s[16:17]
	v_fma_f64 v[2:3], v[186:187], s[54:55], v[0:1]
	v_fma_f64 v[0:1], v[186:187], s[26:27], v[0:1]
	v_add_f64 v[70:71], v[10:11], v[16:17]
	v_mul_f64 v[16:17], v[94:95], s[10:11]
	v_add_f64 v[68:69], v[10:11], v[18:19]
	v_mul_f64 v[18:19], v[90:91], s[46:47]
	v_fma_f64 v[50:51], v[176:177], s[34:35], v[28:29]
	v_fma_f64 v[28:29], v[176:177], s[34:35], -v[28:29]
	v_add_f64 v[176:177], v[10:11], v[20:21]
	v_mul_f64 v[20:21], v[104:105], s[36:37]
	v_add_f64 v[42:43], v[10:11], v[42:43]
	v_mul_f64 v[186:187], v[132:133], s[44:45]
	v_add_f64 v[2:3], v[10:11], v[2:3]
	v_add_f64 v[0:1], v[10:11], v[0:1]
	;; [unrolled: 1-line block ×7, first 2 shown]
	v_fma_f64 v[8:9], v[76:77], s[8:9], v[16:17]
	v_fma_f64 v[10:11], v[80:81], s[30:31], v[20:21]
	;; [unrolled: 1-line block ×3, first 2 shown]
	v_mul_f64 v[62:63], v[122:123], s[20:21]
	v_add_f64 v[2:3], v[8:9], v[2:3]
	v_fma_f64 v[8:9], v[78:79], s[10:11], v[18:19]
	v_add_f64 v[0:1], v[16:17], v[0:1]
	v_fma_f64 v[16:17], v[78:79], s[10:11], -v[18:19]
	v_fma_f64 v[18:19], v[80:81], s[42:43], v[20:21]
	v_add_f64 v[2:3], v[10:11], v[2:3]
	v_add_f64 v[8:9], v[8:9], v[50:51]
	v_fma_f64 v[10:11], v[82:83], s[36:37], v[22:23]
	v_add_f64 v[16:17], v[16:17], v[64:65]
	v_add_f64 v[0:1], v[18:19], v[0:1]
	v_fma_f64 v[18:19], v[82:83], s[36:37], -v[22:23]
	v_mul_f64 v[50:51], v[124:125], s[22:23]
	v_mul_f64 v[64:65], v[122:123], s[8:9]
	v_add_f64 v[8:9], v[10:11], v[8:9]
	v_fma_f64 v[10:11], v[84:85], s[4:5], v[24:25]
	v_add_f64 v[16:17], v[18:19], v[16:17]
	v_fma_f64 v[18:19], v[84:85], s[56:57], v[24:25]
	v_mul_f64 v[24:25], v[104:105], s[16:17]
	v_add_f64 v[2:3], v[10:11], v[2:3]
	v_fma_f64 v[10:11], v[86:87], s[6:7], v[26:27]
	v_add_f64 v[0:1], v[18:19], v[0:1]
	v_fma_f64 v[18:19], v[86:87], s[6:7], -v[26:27]
	v_fma_f64 v[22:23], v[80:81], s[52:53], v[24:25]
	v_mul_f64 v[26:27], v[98:99], s[28:29]
	v_add_f64 v[8:9], v[10:11], v[8:9]
	v_fma_f64 v[10:11], v[88:89], s[50:51], v[50:51]
	v_add_f64 v[16:17], v[18:19], v[16:17]
	v_fma_f64 v[18:19], v[88:89], s[20:21], v[50:51]
	v_mul_f64 v[50:51], v[118:119], s[22:23]
	v_add_f64 v[2:3], v[10:11], v[2:3]
	v_fma_f64 v[10:11], v[92:93], s[22:23], v[62:63]
	v_add_f64 v[0:1], v[18:19], v[0:1]
	v_fma_f64 v[18:19], v[92:93], s[22:23], -v[62:63]
	v_mul_f64 v[62:63], v[124:125], s[10:11]
	v_add_f64 v[8:9], v[10:11], v[8:9]
	v_fma_f64 v[10:11], v[96:97], s[18:19], v[178:179]
	v_add_f64 v[16:17], v[18:19], v[16:17]
	v_fma_f64 v[18:19], v[96:97], s[40:41], v[178:179]
	v_mul_f64 v[178:179], v[130:131], s[34:35]
	v_add_f64 v[2:3], v[10:11], v[2:3]
	v_fma_f64 v[10:11], v[100:101], s[24:25], v[182:183]
	v_add_f64 v[0:1], v[18:19], v[0:1]
	v_fma_f64 v[18:19], v[100:101], s[24:25], -v[182:183]
	;; [unrolled: 10-line block ×3, first 2 shown]
	v_mul_f64 v[188:189], v[110:111], s[56:57]
	v_add_f64 v[8:9], v[10:11], v[8:9]
	v_fma_f64 v[10:11], v[108:109], s[28:29], v[194:195]
	v_add_f64 v[16:17], v[18:19], v[16:17]
	v_fma_f64 v[18:19], v[108:109], s[52:53], v[194:195]
	v_mul_f64 v[194:195], v[120:121], s[44:45]
	v_add_f64 v[10:11], v[10:11], v[2:3]
	v_mul_f64 v[2:3], v[116:117], s[52:53]
	v_add_f64 v[18:19], v[18:19], v[0:1]
	v_mul_f64 v[0:1], v[94:95], s[24:25]
	v_fma_f64 v[199:200], v[112:113], s[16:17], v[2:3]
	v_fma_f64 v[2:3], v[112:113], s[16:17], -v[2:3]
	v_add_f64 v[8:9], v[199:200], v[8:9]
	v_add_f64 v[16:17], v[2:3], v[16:17]
	v_fma_f64 v[2:3], v[76:77], s[18:19], v[0:1]
	v_fma_f64 v[0:1], v[76:77], s[40:41], v[0:1]
	v_add_f64 v[2:3], v[2:3], v[6:7]
	v_mul_f64 v[6:7], v[90:91], s[40:41]
	v_add_f64 v[0:1], v[0:1], v[4:5]
	v_add_f64 v[2:3], v[22:23], v[2:3]
	v_fma_f64 v[20:21], v[78:79], s[24:25], v[6:7]
	v_fma_f64 v[22:23], v[82:83], s[16:17], v[26:27]
	v_fma_f64 v[4:5], v[78:79], s[24:25], -v[6:7]
	v_fma_f64 v[6:7], v[80:81], s[28:29], v[24:25]
	v_add_f64 v[20:21], v[20:21], v[52:53]
	v_mul_f64 v[52:53], v[114:115], s[50:51]
	v_add_f64 v[4:5], v[4:5], v[66:67]
	v_add_f64 v[0:1], v[6:7], v[0:1]
	v_fma_f64 v[6:7], v[82:83], s[16:17], -v[26:27]
	v_mul_f64 v[66:67], v[130:131], s[22:23]
	v_add_f64 v[20:21], v[22:23], v[20:21]
	v_fma_f64 v[22:23], v[84:85], s[20:21], v[50:51]
	v_add_f64 v[4:5], v[6:7], v[4:5]
	v_fma_f64 v[6:7], v[84:85], s[50:51], v[50:51]
	v_mul_f64 v[50:51], v[118:119], s[16:17]
	v_add_f64 v[66:67], v[184:185], v[66:67]
	v_add_f64 v[2:3], v[22:23], v[2:3]
	v_fma_f64 v[22:23], v[86:87], s[22:23], v[52:53]
	v_add_f64 v[0:1], v[6:7], v[0:1]
	v_fma_f64 v[6:7], v[86:87], s[22:23], -v[52:53]
	v_add_f64 v[50:51], v[162:163], v[50:51]
	v_mul_f64 v[162:163], v[94:95], s[16:17]
	v_mul_f64 v[52:53], v[86:87], s[16:17]
	v_add_f64 v[20:21], v[22:23], v[20:21]
	v_fma_f64 v[22:23], v[88:89], s[46:47], v[62:63]
	v_add_f64 v[4:5], v[6:7], v[4:5]
	v_fma_f64 v[6:7], v[88:89], s[8:9], v[62:63]
	v_mul_f64 v[62:63], v[124:125], s[44:45]
	v_add_f64 v[138:139], v[138:139], v[162:163]
	v_add_f64 v[52:53], v[52:53], -v[160:161]
	v_mul_f64 v[162:163], v[94:95], s[44:45]
	v_mul_f64 v[160:161], v[112:113], s[34:35]
	v_add_f64 v[2:3], v[22:23], v[2:3]
	v_fma_f64 v[22:23], v[92:93], s[10:11], v[64:65]
	v_add_f64 v[0:1], v[6:7], v[0:1]
	v_fma_f64 v[6:7], v[92:93], s[10:11], -v[64:65]
	v_add_f64 v[62:63], v[174:175], v[62:63]
	v_add_f64 v[38:39], v[138:139], v[38:39]
	v_mul_f64 v[138:139], v[82:83], s[22:23]
	v_mul_f64 v[64:65], v[92:93], s[44:45]
	v_add_f64 v[160:161], v[160:161], -v[197:198]
	v_add_f64 v[20:21], v[22:23], v[20:21]
	v_fma_f64 v[22:23], v[96:97], s[54:55], v[178:179]
	v_add_f64 v[4:5], v[6:7], v[4:5]
	v_fma_f64 v[6:7], v[96:97], s[26:27], v[178:179]
	v_add_f64 v[134:135], v[138:139], -v[134:135]
	v_add_f64 v[64:65], v[64:65], -v[172:173]
	v_fma_f64 v[172:173], v[76:77], s[38:39], v[162:163]
	v_fma_f64 v[162:163], v[76:77], s[48:49], v[162:163]
	v_add_f64 v[2:3], v[22:23], v[2:3]
	v_fma_f64 v[22:23], v[100:101], s[34:35], v[182:183]
	v_add_f64 v[0:1], v[6:7], v[0:1]
	v_fma_f64 v[6:7], v[100:101], s[34:35], -v[182:183]
	v_add_f64 v[68:69], v[172:173], v[68:69]
	v_mul_f64 v[172:173], v[90:91], s[48:49]
	v_add_f64 v[70:71], v[162:163], v[70:71]
	v_add_f64 v[20:21], v[22:23], v[20:21]
	v_fma_f64 v[22:23], v[102:103], s[4:5], v[186:187]
	v_add_f64 v[4:5], v[6:7], v[4:5]
	v_fma_f64 v[6:7], v[102:103], s[56:57], v[186:187]
	v_fma_f64 v[174:175], v[78:79], s[44:45], v[172:173]
	v_add_f64 v[2:3], v[22:23], v[2:3]
	v_fma_f64 v[22:23], v[106:107], s[6:7], v[188:189]
	v_add_f64 v[0:1], v[6:7], v[0:1]
	v_fma_f64 v[6:7], v[106:107], s[6:7], -v[188:189]
	v_add_f64 v[54:55], v[174:175], v[54:55]
	v_add_f64 v[20:21], v[22:23], v[20:21]
	v_fma_f64 v[22:23], v[108:109], s[48:49], v[194:195]
	v_add_f64 v[4:5], v[6:7], v[4:5]
	v_fma_f64 v[6:7], v[108:109], s[38:39], v[194:195]
	v_add_f64 v[22:23], v[22:23], v[2:3]
	v_mul_f64 v[2:3], v[116:117], s[38:39]
	v_add_f64 v[26:27], v[6:7], v[0:1]
	v_mul_f64 v[0:1], v[94:95], s[6:7]
	v_mul_f64 v[6:7], v[82:83], s[24:25]
	v_fma_f64 v[199:200], v[112:113], s[44:45], v[2:3]
	v_fma_f64 v[2:3], v[112:113], s[44:45], -v[2:3]
	v_add_f64 v[0:1], v[146:147], v[0:1]
	v_mul_f64 v[146:147], v[132:133], s[36:37]
	v_add_f64 v[6:7], v[6:7], -v[152:153]
	v_mul_f64 v[152:153], v[106:107], s[36:37]
	v_add_f64 v[20:21], v[199:200], v[20:21]
	v_add_f64 v[24:25], v[2:3], v[4:5]
	v_mul_f64 v[4:5], v[104:105], s[24:25]
	v_mul_f64 v[2:3], v[78:79], s[6:7]
	v_add_f64 v[0:1], v[0:1], v[42:43]
	v_add_f64 v[146:147], v[192:193], v[146:147]
	v_mul_f64 v[42:43], v[104:105], s[10:11]
	v_add_f64 v[152:153], v[152:153], -v[190:191]
	v_add_f64 v[4:5], v[154:155], v[4:5]
	v_add_f64 v[2:3], v[2:3], -v[144:145]
	v_mul_f64 v[144:145], v[100:101], s[22:23]
	v_mul_f64 v[154:155], v[120:121], s[34:35]
	v_add_f64 v[0:1], v[4:5], v[0:1]
	v_add_f64 v[2:3], v[2:3], v[60:61]
	v_add_f64 v[144:145], v[144:145], -v[180:181]
	v_fma_f64 v[60:61], v[80:81], s[46:47], v[42:43]
	v_mul_f64 v[4:5], v[118:119], s[36:37]
	v_fma_f64 v[42:43], v[80:81], s[8:9], v[42:43]
	v_add_f64 v[154:155], v[201:202], v[154:155]
	v_add_f64 v[0:1], v[50:51], v[0:1]
	;; [unrolled: 1-line block ×3, first 2 shown]
	v_mul_f64 v[50:51], v[124:125], s[16:17]
	v_add_f64 v[60:61], v[60:61], v[68:69]
	v_mul_f64 v[68:69], v[98:99], s[8:9]
	v_fma_f64 v[6:7], v[84:85], s[30:31], v[4:5]
	v_add_f64 v[42:43], v[42:43], v[70:71]
	v_fma_f64 v[4:5], v[84:85], s[42:43], v[4:5]
	v_add_f64 v[0:1], v[62:63], v[0:1]
	v_add_f64 v[2:3], v[52:53], v[2:3]
	v_fma_f64 v[52:53], v[88:89], s[28:29], v[50:51]
	v_mul_f64 v[62:63], v[130:131], s[6:7]
	v_fma_f64 v[174:175], v[82:83], s[10:11], v[68:69]
	v_add_f64 v[6:7], v[6:7], v[60:61]
	v_mul_f64 v[60:61], v[114:115], s[42:43]
	v_add_f64 v[4:5], v[4:5], v[42:43]
	v_fma_f64 v[42:43], v[78:79], s[44:45], -v[172:173]
	v_fma_f64 v[50:51], v[88:89], s[52:53], v[50:51]
	v_add_f64 v[0:1], v[66:67], v[0:1]
	v_add_f64 v[2:3], v[64:65], v[2:3]
	v_mul_f64 v[66:67], v[132:133], s[34:35]
	v_fma_f64 v[64:65], v[96:97], s[56:57], v[62:63]
	v_add_f64 v[54:55], v[174:175], v[54:55]
	v_add_f64 v[6:7], v[52:53], v[6:7]
	v_fma_f64 v[174:175], v[86:87], s[36:37], v[60:61]
	v_mul_f64 v[52:53], v[122:123], s[52:53]
	v_add_f64 v[42:43], v[42:43], v[72:73]
	v_add_f64 v[4:5], v[50:51], v[4:5]
	v_fma_f64 v[50:51], v[82:83], s[10:11], -v[68:69]
	v_mul_f64 v[72:73], v[116:117], s[40:41]
	v_add_f64 v[0:1], v[146:147], v[0:1]
	v_mul_f64 v[146:147], v[78:79], s[16:17]
	v_add_f64 v[2:3], v[144:145], v[2:3]
	v_fma_f64 v[144:145], v[102:103], s[54:55], v[66:67]
	v_fma_f64 v[66:67], v[102:103], s[26:27], v[66:67]
	v_add_f64 v[6:7], v[64:65], v[6:7]
	v_add_f64 v[54:55], v[174:175], v[54:55]
	v_fma_f64 v[174:175], v[92:93], s[16:17], v[52:53]
	v_mul_f64 v[64:65], v[126:127], s[4:5]
	v_add_f64 v[42:43], v[50:51], v[42:43]
	v_fma_f64 v[50:51], v[86:87], s[36:37], -v[60:61]
	v_add_f64 v[128:129], v[146:147], -v[128:129]
	v_mul_f64 v[146:147], v[104:105], s[22:23]
	v_add_f64 v[2:3], v[152:153], v[2:3]
	v_add_f64 v[6:7], v[144:145], v[6:7]
	v_mul_f64 v[144:145], v[110:111], s[26:27]
	v_add_f64 v[54:55], v[174:175], v[54:55]
	v_fma_f64 v[174:175], v[100:101], s[6:7], v[64:65]
	v_add_f64 v[42:43], v[50:51], v[42:43]
	v_fma_f64 v[50:51], v[96:97], s[4:5], v[62:63]
	v_add_f64 v[40:41], v[128:129], v[40:41]
	v_add_f64 v[136:137], v[136:137], v[146:147]
	v_mul_f64 v[128:129], v[118:119], s[34:35]
	v_add_f64 v[54:55], v[174:175], v[54:55]
	v_fma_f64 v[174:175], v[106:107], s[34:35], v[144:145]
	v_add_f64 v[4:5], v[50:51], v[4:5]
	v_fma_f64 v[50:51], v[92:93], s[16:17], -v[52:53]
	v_add_f64 v[40:41], v[134:135], v[40:41]
	v_add_f64 v[38:39], v[136:137], v[38:39]
	v_mul_f64 v[136:137], v[86:87], s[34:35]
	v_add_f64 v[128:129], v[142:143], v[128:129]
	v_mul_f64 v[134:135], v[124:125], s[36:37]
	v_add_f64 v[54:55], v[174:175], v[54:55]
	v_add_f64 v[4:5], v[66:67], v[4:5]
	;; [unrolled: 1-line block ×3, first 2 shown]
	v_fma_f64 v[50:51], v[100:101], s[6:7], -v[64:65]
	v_mul_f64 v[64:65], v[110:111], s[8:9]
	v_add_f64 v[136:137], v[136:137], -v[140:141]
	v_add_f64 v[38:39], v[128:129], v[38:39]
	v_add_f64 v[134:135], v[150:151], v[134:135]
	v_mul_f64 v[128:129], v[92:93], s[36:37]
	v_add_f64 v[42:43], v[50:51], v[42:43]
	v_add_f64 v[40:41], v[136:137], v[40:41]
	v_mul_f64 v[136:137], v[130:131], s[44:45]
	v_add_f64 v[38:39], v[134:135], v[38:39]
	v_add_f64 v[128:129], v[128:129], -v[148:149]
	v_mul_f64 v[134:135], v[100:101], s[44:45]
	v_add_f64 v[136:137], v[158:159], v[136:137]
	v_add_f64 v[40:41], v[128:129], v[40:41]
	v_add_f64 v[134:135], v[134:135], -v[156:157]
	v_mul_f64 v[128:129], v[132:133], s[24:25]
	v_add_f64 v[38:39], v[136:137], v[38:39]
	v_mul_f64 v[136:137], v[106:107], s[24:25]
	v_add_f64 v[40:41], v[134:135], v[40:41]
	v_add_f64 v[128:129], v[166:167], v[128:129]
	v_mul_f64 v[134:135], v[120:121], s[10:11]
	v_add_f64 v[136:137], v[136:137], -v[164:165]
	v_add_f64 v[38:39], v[128:129], v[38:39]
	v_mul_f64 v[128:129], v[112:113], s[10:11]
	v_add_f64 v[134:135], v[170:171], v[134:135]
	v_add_f64 v[40:41], v[136:137], v[40:41]
	v_mul_f64 v[136:137], v[94:95], s[22:23]
	v_add_f64 v[128:129], v[128:129], -v[168:169]
	v_add_f64 v[38:39], v[134:135], v[38:39]
	v_fma_f64 v[138:139], v[76:77], s[20:21], v[136:137]
	v_add_f64 v[36:37], v[138:139], v[36:37]
	v_mul_f64 v[138:139], v[104:105], s[34:35]
	v_fma_f64 v[140:141], v[80:81], s[54:55], v[138:139]
	v_add_f64 v[36:37], v[140:141], v[36:37]
	v_mul_f64 v[140:141], v[90:91], s[20:21]
	v_fma_f64 v[142:143], v[78:79], s[22:23], -v[140:141]
	v_add_f64 v[48:49], v[142:143], v[48:49]
	v_mul_f64 v[142:143], v[98:99], s[54:55]
	v_fma_f64 v[146:147], v[82:83], s[34:35], -v[142:143]
	v_add_f64 v[48:49], v[146:147], v[48:49]
	v_mul_f64 v[146:147], v[118:119], s[44:45]
	v_fma_f64 v[148:149], v[84:85], s[48:49], v[146:147]
	v_add_f64 v[36:37], v[148:149], v[36:37]
	v_mul_f64 v[148:149], v[114:115], s[48:49]
	v_fma_f64 v[150:151], v[86:87], s[44:45], -v[148:149]
	v_add_f64 v[48:49], v[150:151], v[48:49]
	v_mul_f64 v[150:151], v[124:125], s[6:7]
	v_fma_f64 v[152:153], v[88:89], s[56:57], v[150:151]
	;; [unrolled: 6-line block ×3, first 2 shown]
	v_fma_f64 v[70:71], v[96:97], s[46:47], v[156:157]
	v_add_f64 v[36:37], v[158:159], v[36:37]
	v_mul_f64 v[158:159], v[126:127], s[8:9]
	v_fma_f64 v[164:165], v[100:101], s[10:11], -v[158:159]
	v_add_f64 v[48:49], v[164:165], v[48:49]
	v_mul_f64 v[164:165], v[132:133], s[16:17]
	v_fma_f64 v[166:167], v[102:103], s[28:29], v[164:165]
	v_add_f64 v[166:167], v[166:167], v[36:37]
	v_mul_f64 v[36:37], v[110:111], s[28:29]
	v_fma_f64 v[168:169], v[106:107], s[16:17], -v[36:37]
	v_fma_f64 v[36:37], v[106:107], s[16:17], v[36:37]
	v_add_f64 v[48:49], v[168:169], v[48:49]
	v_mul_f64 v[168:169], v[94:95], s[34:35]
	v_fma_f64 v[170:171], v[76:77], s[26:27], v[168:169]
	v_add_f64 v[58:59], v[170:171], v[58:59]
	v_mul_f64 v[170:171], v[104:105], s[44:45]
	v_mul_f64 v[104:105], v[104:105], s[6:7]
	v_fma_f64 v[174:175], v[80:81], s[48:49], v[170:171]
	v_fma_f64 v[50:51], v[80:81], s[4:5], v[104:105]
	v_add_f64 v[58:59], v[174:175], v[58:59]
	v_mul_f64 v[174:175], v[118:119], s[10:11]
	v_mul_f64 v[118:119], v[118:119], s[24:25]
	v_fma_f64 v[178:179], v[84:85], s[46:47], v[174:175]
	v_fma_f64 v[52:53], v[84:85], s[40:41], v[118:119]
	v_add_f64 v[58:59], v[178:179], v[58:59]
	v_mul_f64 v[178:179], v[124:125], s[24:25]
	v_mul_f64 v[124:125], v[124:125], s[34:35]
	v_fma_f64 v[180:181], v[88:89], s[18:19], v[178:179]
	v_add_f64 v[58:59], v[180:181], v[58:59]
	v_mul_f64 v[180:181], v[130:131], s[36:37]
	v_mul_f64 v[130:131], v[130:131], s[16:17]
	v_fma_f64 v[182:183], v[96:97], s[42:43], v[180:181]
	v_fma_f64 v[62:63], v[96:97], s[30:31], v[180:181]
	v_add_f64 v[58:59], v[182:183], v[58:59]
	v_mul_f64 v[182:183], v[90:91], s[26:27]
	v_mul_f64 v[90:91], v[90:91], s[30:31]
	v_fma_f64 v[184:185], v[78:79], s[34:35], -v[182:183]
	v_add_f64 v[46:47], v[184:185], v[46:47]
	v_mul_f64 v[184:185], v[98:99], s[48:49]
	v_mul_f64 v[98:99], v[98:99], s[56:57]
	v_fma_f64 v[186:187], v[82:83], s[44:45], -v[184:185]
	;; [unrolled: 4-line block ×3, first 2 shown]
	v_fma_f64 v[60:61], v[86:87], s[10:11], v[186:187]
	v_add_f64 v[46:47], v[188:189], v[46:47]
	v_mul_f64 v[188:189], v[122:123], s[18:19]
	v_mul_f64 v[122:123], v[122:123], s[26:27]
	v_fma_f64 v[190:191], v[92:93], s[24:25], -v[188:189]
	v_add_f64 v[46:47], v[190:191], v[46:47]
	v_mul_f64 v[190:191], v[126:127], s[42:43]
	v_mul_f64 v[126:127], v[126:127], s[52:53]
	v_fma_f64 v[192:193], v[100:101], s[36:37], -v[190:191]
	v_fma_f64 v[68:69], v[100:101], s[36:37], v[190:191]
	v_add_f64 v[46:47], v[192:193], v[46:47]
	v_mul_f64 v[192:193], v[132:133], s[22:23]
	v_mul_f64 v[132:133], v[132:133], s[10:11]
	v_fma_f64 v[194:195], v[102:103], s[50:51], v[192:193]
	v_add_f64 v[58:59], v[194:195], v[58:59]
	v_mul_f64 v[194:195], v[110:111], s[50:51]
	v_fma_f64 v[197:198], v[106:107], s[22:23], -v[194:195]
	v_add_f64 v[197:198], v[197:198], v[46:47]
	v_mul_f64 v[46:47], v[94:95], s[36:37]
	v_fma_f64 v[94:95], v[76:77], s[30:31], v[46:47]
	v_fma_f64 v[46:47], v[76:77], s[42:43], v[46:47]
	v_add_f64 v[94:95], v[94:95], v[176:177]
	v_add_f64 v[46:47], v[46:47], v[74:75]
	v_fma_f64 v[176:177], v[80:81], s[56:57], v[104:105]
	v_fma_f64 v[74:75], v[100:101], s[10:11], v[158:159]
	v_add_f64 v[46:47], v[50:51], v[46:47]
	v_fma_f64 v[50:51], v[78:79], s[36:37], v[90:91]
	v_add_f64 v[94:95], v[176:177], v[94:95]
	;; [unrolled: 2-line block ×3, first 2 shown]
	v_add_f64 v[50:51], v[50:51], v[56:57]
	v_fma_f64 v[52:53], v[82:83], s[6:7], v[98:99]
	v_add_f64 v[94:95], v[176:177], v[94:95]
	v_fma_f64 v[176:177], v[78:79], s[36:37], -v[90:91]
	v_fma_f64 v[56:57], v[78:79], s[22:23], v[140:141]
	v_fma_f64 v[90:91], v[102:103], s[52:53], v[164:165]
	v_add_f64 v[50:51], v[52:53], v[50:51]
	v_fma_f64 v[52:53], v[88:89], s[54:55], v[124:125]
	v_add_f64 v[44:45], v[176:177], v[44:45]
	v_fma_f64 v[176:177], v[82:83], s[6:7], -v[98:99]
	v_add_f64 v[30:31], v[56:57], v[30:31]
	v_fma_f64 v[56:57], v[88:89], s[40:41], v[178:179]
	v_add_f64 v[46:47], v[52:53], v[46:47]
	v_fma_f64 v[52:53], v[86:87], s[24:25], v[114:115]
	;; [unrolled: 2-line block ×4, first 2 shown]
	v_add_f64 v[94:95], v[176:177], v[94:95]
	v_fma_f64 v[176:177], v[86:87], s[24:25], -v[114:115]
	v_add_f64 v[46:47], v[52:53], v[46:47]
	v_fma_f64 v[52:53], v[92:93], s[34:35], v[122:123]
	v_add_f64 v[44:45], v[176:177], v[44:45]
	v_fma_f64 v[176:177], v[96:97], s[52:53], v[130:131]
	;; [unrolled: 2-line block ×3, first 2 shown]
	v_add_f64 v[94:95], v[176:177], v[94:95]
	v_fma_f64 v[176:177], v[92:93], s[34:35], -v[122:123]
	v_add_f64 v[34:35], v[52:53], v[34:35]
	v_fma_f64 v[52:53], v[78:79], s[34:35], v[182:183]
	v_add_f64 v[44:45], v[176:177], v[44:45]
	v_fma_f64 v[176:177], v[102:103], s[8:9], v[132:133]
	v_fma_f64 v[78:79], v[106:107], s[34:35], -v[144:145]
	v_add_f64 v[32:33], v[52:53], v[32:33]
	v_fma_f64 v[52:53], v[80:81], s[38:39], v[170:171]
	v_add_f64 v[94:95], v[176:177], v[94:95]
	v_fma_f64 v[176:177], v[100:101], s[16:17], -v[126:127]
	v_add_f64 v[78:79], v[78:79], v[42:43]
	v_add_f64 v[34:35], v[52:53], v[34:35]
	v_fma_f64 v[52:53], v[82:83], s[44:45], v[184:185]
	v_add_f64 v[44:45], v[176:177], v[44:45]
	v_add_f64 v[32:33], v[52:53], v[32:33]
	v_fma_f64 v[52:53], v[84:85], s[8:9], v[174:175]
	;; [unrolled: 3-line block ×3, first 2 shown]
	v_fma_f64 v[60:61], v[80:81], s[26:27], v[138:139]
	v_mul_f64 v[76:77], v[116:117], s[42:43]
	v_mul_f64 v[80:81], v[120:121], s[22:23]
	v_add_f64 v[34:35], v[56:57], v[34:35]
	v_add_f64 v[28:29], v[52:53], v[28:29]
	v_fma_f64 v[52:53], v[82:83], s[34:35], v[142:143]
	v_fma_f64 v[56:57], v[84:85], s[38:39], v[146:147]
	v_mul_f64 v[84:85], v[116:117], s[20:21]
	v_fma_f64 v[82:83], v[102:103], s[46:47], v[132:133]
	v_fma_f64 v[98:99], v[108:109], s[20:21], v[80:81]
	;; [unrolled: 1-line block ×3, first 2 shown]
	v_add_f64 v[34:35], v[62:63], v[34:35]
	v_add_f64 v[28:29], v[60:61], v[28:29]
	v_fma_f64 v[60:61], v[86:87], s[44:45], v[148:149]
	v_add_f64 v[30:31], v[52:53], v[30:31]
	v_fma_f64 v[52:53], v[92:93], s[24:25], v[188:189]
	v_fma_f64 v[62:63], v[106:107], s[10:11], -v[64:65]
	v_fma_f64 v[64:65], v[106:107], s[10:11], v[64:65]
	v_fma_f64 v[86:87], v[102:103], s[20:21], v[192:193]
	v_add_f64 v[82:83], v[82:83], v[46:47]
	v_add_f64 v[28:29], v[56:57], v[28:29]
	v_fma_f64 v[56:57], v[92:93], s[6:7], v[152:153]
	v_add_f64 v[30:31], v[60:61], v[30:31]
	v_add_f64 v[32:33], v[52:53], v[32:33]
	v_fma_f64 v[52:53], v[88:89], s[4:5], v[150:151]
	v_fma_f64 v[60:61], v[100:101], s[16:17], v[126:127]
	;; [unrolled: 1-line block ×3, first 2 shown]
	v_add_f64 v[62:63], v[62:63], v[44:45]
	v_fma_f64 v[100:101], v[112:113], s[22:23], -v[84:85]
	v_fma_f64 v[84:85], v[112:113], s[22:23], v[84:85]
	v_add_f64 v[86:87], v[86:87], v[34:35]
	v_add_f64 v[34:35], v[154:155], v[0:1]
	v_mul_lo_u16 v0, v224, 17
	v_and_b32_e32 v0, 0xffff, v0
	v_add_lshl_u32 v0, v232, v0, 4
	v_add_f64 v[30:31], v[56:57], v[30:31]
	v_mul_f64 v[56:57], v[120:121], s[6:7]
	v_add_f64 v[28:29], v[52:53], v[28:29]
	v_mul_f64 v[52:53], v[120:121], s[36:37]
	;; [unrolled: 2-line block ×4, first 2 shown]
	v_add_f64 v[30:31], v[74:75], v[30:31]
	v_fma_f64 v[74:75], v[112:113], s[36:37], -v[76:77]
	v_add_f64 v[28:29], v[70:71], v[28:29]
	v_fma_f64 v[96:97], v[108:109], s[42:43], v[52:53]
	v_fma_f64 v[44:45], v[108:109], s[56:57], v[56:57]
	v_fma_f64 v[66:67], v[112:113], s[6:7], -v[68:69]
	v_fma_f64 v[70:71], v[112:113], s[24:25], v[72:73]
	v_fma_f64 v[92:93], v[108:109], s[18:19], v[60:61]
	;; [unrolled: 1-line block ×3, first 2 shown]
	v_fma_f64 v[72:73], v[112:113], s[24:25], -v[72:73]
	v_add_f64 v[64:65], v[64:65], v[50:51]
	v_add_f64 v[88:89], v[88:89], v[32:33]
	v_fma_f64 v[102:103], v[108:109], s[4:5], v[56:57]
	v_fma_f64 v[68:69], v[112:113], s[6:7], v[68:69]
	;; [unrolled: 1-line block ×4, first 2 shown]
	v_add_f64 v[32:33], v[160:161], v[2:3]
	v_add_f64 v[50:51], v[98:99], v[94:95]
	;; [unrolled: 1-line block ×20, first 2 shown]
	ds_write_b128 v0, v[12:15]
	ds_write_b128 v0, v[32:35] offset:16
	ds_write_b128 v0, v[36:39] offset:32
	;; [unrolled: 1-line block ×16, first 2 shown]
.LBB0_7:
	s_or_b32 exec_lo, exec_lo, s33
	v_add_co_u32 v96, null, 0x66, v224
	v_add_co_u32 v68, null, v224, 51
	;; [unrolled: 1-line block ×3, first 2 shown]
	v_and_b32_e32 v64, 0xff, v96
	v_and_b32_e32 v0, 0xff, v68
	v_mov_b32_e32 v9, 5
	s_load_dwordx4 s[4:7], s[0:1], 0x0
	s_waitcnt lgkmcnt(0)
	v_mul_lo_u16 v11, 0xf1, v64
	v_mul_lo_u16 v0, 0xf1, v0
	s_barrier
	buffer_gl0_inv
	v_add_co_u32 v112, null, 0xcc, v224
	v_lshrrev_b16 v95, 12, v11
	v_lshrrev_b16 v8, 12, v0
	v_and_b32_e32 v0, 0xff, v104
	v_and_b32_e32 v1, 0xff, v224
	v_and_b32_e32 v2, 0xff, v112
	v_mul_lo_u16 v3, v95, 17
	v_mul_lo_u16 v10, v8, 17
	;; [unrolled: 1-line block ×5, first 2 shown]
	v_sub_nc_u16 v111, v96, v3
	v_sub_nc_u16 v103, v68, v10
	v_lshrrev_b16 v123, 12, v0
	v_lshrrev_b16 v124, 12, v1
	;; [unrolled: 1-line block ×3, first 2 shown]
	v_lshlrev_b32_sdwa v0, v9, v111 dst_sel:DWORD dst_unused:UNUSED_PAD src0_sel:DWORD src1_sel:BYTE_0
	v_lshlrev_b32_sdwa v4, v9, v103 dst_sel:DWORD dst_unused:UNUSED_PAD src0_sel:DWORD src1_sel:BYTE_0
	v_mul_lo_u16 v1, v123, 17
	v_mul_lo_u16 v2, v124, 17
	v_add_lshl_u32 v227, v232, v224, 4
	s_clause 0x2
	global_load_dwordx4 v[15:18], v0, s[2:3]
	global_load_dwordx4 v[115:118], v0, s[2:3] offset:16
	global_load_dwordx4 v[36:39], v4, s[2:3]
	v_sub_nc_u16 v126, v104, v1
	v_mul_lo_u16 v1, v125, 17
	v_sub_nc_u16 v127, v224, v2
	global_load_dwordx4 v[40:43], v4, s[2:3] offset:16
	s_mov_b32 s8, 0xe8584caa
	v_lshlrev_b32_sdwa v0, v9, v126 dst_sel:DWORD dst_unused:UNUSED_PAD src0_sel:DWORD src1_sel:BYTE_0
	v_sub_nc_u16 v128, v112, v1
	v_lshlrev_b16 v1, 1, v127
	s_mov_b32 s9, 0x3febb67a
	s_mov_b32 s11, 0xbfebb67a
	global_load_dwordx4 v[32:35], v0, s[2:3]
	v_lshlrev_b32_sdwa v2, v9, v128 dst_sel:DWORD dst_unused:UNUSED_PAD src0_sel:DWORD src1_sel:BYTE_0
	s_clause 0x1
	global_load_dwordx4 v[28:31], v0, s[2:3] offset:16
	global_load_dwordx4 v[24:27], v2, s[2:3]
	v_and_b32_e32 v0, 0xfe, v1
	global_load_dwordx4 v[20:23], v2, s[2:3] offset:16
	s_mov_b32 s10, s8
	v_mul_lo_u16 v64, 0xa1, v64
	s_mov_b32 s18, 0x134454ff
	v_lshlrev_b32_e32 v0, 4, v0
	s_clause 0x1
	global_load_dwordx4 v[44:47], v0, s[2:3]
	global_load_dwordx4 v[48:51], v0, s[2:3] offset:16
	ds_read_b128 v[52:55], v227 offset:4896
	ds_read_b128 v[56:59], v227 offset:8976
	;; [unrolled: 1-line block ×10, first 2 shown]
	v_lshrrev_b16 v64, 13, v64
	s_mov_b32 s19, 0x3fee6f0e
	s_mov_b32 s21, 0xbfee6f0e
	;; [unrolled: 1-line block ×4, first 2 shown]
	v_mul_lo_u16 v64, v64, 51
	s_mov_b32 s1, 0x3fe2cf23
	s_mov_b32 s17, 0xbfe2cf23
	;; [unrolled: 1-line block ×4, first 2 shown]
	v_sub_nc_u16 v64, v96, v64
	s_mov_b32 s23, 0x3fd3c6ef
	v_lshlrev_b32_e32 v96, 5, v96
	v_lshlrev_b32_e32 v104, 5, v104
	;; [unrolled: 1-line block ×3, first 2 shown]
	v_and_b32_e32 v64, 0xff, v64
	v_lshl_add_u32 v235, v224, 4, v221
	v_add_lshl_u32 v233, v232, v64, 4
	s_waitcnt vmcnt(9) lgkmcnt(7)
	v_mul_f64 v[9:10], v[62:63], v[17:18]
	s_waitcnt vmcnt(8) lgkmcnt(6)
	v_mul_f64 v[13:14], v[71:72], v[117:118]
	s_waitcnt vmcnt(7)
	v_mul_f64 v[0:1], v[54:55], v[38:39]
	v_mul_f64 v[2:3], v[52:53], v[38:39]
	;; [unrolled: 1-line block ×4, first 2 shown]
	s_waitcnt vmcnt(6)
	v_mul_f64 v[4:5], v[58:59], v[42:43]
	v_mul_f64 v[6:7], v[56:57], v[42:43]
	s_waitcnt vmcnt(5) lgkmcnt(5)
	v_mul_f64 v[93:94], v[75:76], v[34:35]
	v_mul_f64 v[101:102], v[73:74], v[34:35]
	s_waitcnt vmcnt(4) lgkmcnt(4)
	;; [unrolled: 3-line block ×3, first 2 shown]
	v_mul_f64 v[113:114], v[81:82], v[26:27]
	v_mul_f64 v[109:110], v[83:84], v[26:27]
	v_fma_f64 v[9:10], v[60:61], v[15:16], -v[9:10]
	buffer_store_dword v15, off, s[60:63], 0 ; 4-byte Folded Spill
	buffer_store_dword v16, off, s[60:63], 0 offset:4 ; 4-byte Folded Spill
	buffer_store_dword v17, off, s[60:63], 0 offset:8 ; 4-byte Folded Spill
	;; [unrolled: 1-line block ×3, first 2 shown]
	v_fma_f64 v[0:1], v[52:53], v[36:37], -v[0:1]
	v_fma_f64 v[2:3], v[54:55], v[36:37], v[2:3]
	ds_read_b128 v[52:55], v227 offset:3264
	v_fma_f64 v[13:14], v[69:70], v[115:116], -v[13:14]
	buffer_store_dword v115, off, s[60:63], 0 offset:16 ; 4-byte Folded Spill
	buffer_store_dword v116, off, s[60:63], 0 offset:20 ; 4-byte Folded Spill
	;; [unrolled: 1-line block ×4, first 2 shown]
	v_fma_f64 v[4:5], v[56:57], v[40:41], -v[4:5]
	v_fma_f64 v[6:7], v[58:59], v[40:41], v[6:7]
	s_waitcnt vmcnt(2) lgkmcnt(2)
	v_mul_f64 v[56:57], v[91:92], v[22:23]
	v_mul_f64 v[60:61], v[89:90], v[22:23]
	s_waitcnt vmcnt(1) lgkmcnt(1)
	v_mul_f64 v[69:70], v[97:98], v[46:47]
	v_fma_f64 v[73:74], v[73:74], v[32:33], -v[93:94]
	v_fma_f64 v[75:76], v[75:76], v[32:33], v[101:102]
	s_waitcnt vmcnt(0)
	v_mul_f64 v[93:94], v[85:86], v[50:51]
	v_fma_f64 v[77:78], v[77:78], v[28:29], -v[105:106]
	v_fma_f64 v[79:80], v[79:80], v[28:29], v[107:108]
	v_fma_f64 v[83:84], v[83:84], v[24:25], v[113:114]
	v_fma_f64 v[81:82], v[81:82], v[24:25], -v[109:110]
	v_add_f64 v[107:108], v[9:10], v[13:14]
	v_add_f64 v[101:102], v[0:1], v[4:5]
	;; [unrolled: 1-line block ×3, first 2 shown]
	v_fma_f64 v[89:90], v[89:90], v[20:21], -v[56:57]
	ds_read_b128 v[56:59], v227 offset:816
	v_fma_f64 v[91:92], v[91:92], v[20:21], v[60:61]
	v_add_f64 v[117:118], v[75:76], v[79:80]
	v_fma_f64 v[11:12], v[62:63], v[15:16], v[11:12]
	v_mul_f64 v[62:63], v[99:100], v[46:47]
	v_fma_f64 v[99:100], v[99:100], v[44:45], v[69:70]
	v_fma_f64 v[65:66], v[71:72], v[115:116], v[65:66]
	v_mul_f64 v[71:72], v[87:88], v[50:51]
	v_fma_f64 v[87:88], v[87:88], v[48:49], v[93:94]
	v_add_f64 v[115:116], v[73:74], v[77:78]
	v_fma_f64 v[97:98], v[97:98], v[44:45], -v[62:63]
	ds_read_b128 v[60:63], v227 offset:1632
	v_add_f64 v[113:114], v[11:12], v[65:66]
	v_fma_f64 v[85:86], v[85:86], v[48:49], -v[71:72]
	ds_read_b128 v[69:72], v227
	s_waitcnt lgkmcnt(2)
	v_add_f64 v[93:94], v[58:59], v[2:3]
	v_fma_f64 v[101:102], v[101:102], -0.5, v[56:57]
	v_fma_f64 v[105:106], v[105:106], -0.5, v[58:59]
	v_add_f64 v[109:110], v[56:57], v[0:1]
	ds_read_b128 v[56:59], v227 offset:2448
	v_add_f64 v[2:3], v[2:3], -v[6:7]
	v_add_f64 v[0:1], v[0:1], -v[4:5]
	s_waitcnt lgkmcnt(0)
	s_waitcnt_vscnt null, 0x0
	s_barrier
	buffer_gl0_inv
	v_fma_f64 v[107:108], v[107:108], -0.5, v[60:61]
	v_add_f64 v[60:61], v[60:61], v[9:10]
	v_fma_f64 v[113:114], v[113:114], -0.5, v[62:63]
	v_add_f64 v[62:63], v[62:63], v[11:12]
	v_fma_f64 v[115:116], v[115:116], -0.5, v[56:57]
	v_fma_f64 v[117:118], v[117:118], -0.5, v[58:59]
	v_add_f64 v[119:120], v[58:59], v[75:76]
	v_add_f64 v[121:122], v[56:57], v[73:74]
	;; [unrolled: 1-line block ×4, first 2 shown]
	v_add_f64 v[4:5], v[11:12], -v[65:66]
	v_add_f64 v[6:7], v[9:10], -v[13:14]
	v_add_f64 v[9:10], v[81:82], v[89:90]
	v_mov_b32_e32 v11, 51
	v_add_f64 v[60:61], v[60:61], v[13:14]
	v_add_f64 v[12:13], v[75:76], -v[79:80]
	v_add_f64 v[14:15], v[73:74], -v[77:78]
	v_mul_u32_u24_sdwa v8, v8, v11 dst_sel:DWORD dst_unused:UNUSED_PAD src0_sel:WORD_0 src1_sel:DWORD
	v_add_f64 v[62:63], v[62:63], v[65:66]
	v_add_f64 v[65:66], v[83:84], v[91:92]
	;; [unrolled: 1-line block ×4, first 2 shown]
	v_add_f64 v[121:122], v[83:84], -v[91:92]
	v_fma_f64 v[77:78], v[2:3], s[10:11], v[101:102]
	v_fma_f64 v[79:80], v[0:1], s[8:9], v[105:106]
	v_fma_f64 v[93:94], v[9:10], -0.5, v[52:53]
	v_add_f64 v[9:10], v[54:55], v[83:84]
	v_add_f64 v[52:53], v[52:53], v[81:82]
	v_fma_f64 v[66:67], v[65:66], -0.5, v[54:55]
	v_add_f64 v[54:55], v[97:98], v[85:86]
	v_mul_u32_u24_sdwa v65, v95, v11 dst_sel:DWORD dst_unused:UNUSED_PAD src0_sel:WORD_0 src1_sel:DWORD
	v_add_nc_u32_sdwa v95, v8, v103 dst_sel:DWORD dst_unused:UNUSED_PAD src0_sel:DWORD src1_sel:BYTE_0
	v_add_nc_u32_sdwa v103, v65, v111 dst_sel:DWORD dst_unused:UNUSED_PAD src0_sel:DWORD src1_sel:BYTE_0
	v_lshlrev_b32_e32 v65, 6, v224
	v_fma_f64 v[109:110], v[54:55], -0.5, v[69:70]
	v_add_f64 v[54:55], v[99:100], v[87:88]
	v_add_f64 v[69:70], v[69:70], v[97:98]
	v_add_f64 v[97:98], v[97:98], -v[85:86]
	v_fma_f64 v[119:120], v[54:55], -0.5, v[71:72]
	v_add_f64 v[54:55], v[71:72], v[99:100]
	v_add_f64 v[99:100], v[99:100], -v[87:88]
	v_mul_u32_u24_sdwa v71, v123, v11 dst_sel:DWORD dst_unused:UNUSED_PAD src0_sel:WORD_0 src1_sel:DWORD
	v_mad_u16 v72, v124, 51, v127
	v_add_f64 v[123:124], v[81:82], -v[89:90]
	v_mul_u32_u24_sdwa v11, v125, v11 dst_sel:DWORD dst_unused:UNUSED_PAD src0_sel:WORD_0 src1_sel:DWORD
	v_add_nc_u32_sdwa v111, v71, v126 dst_sel:DWORD dst_unused:UNUSED_PAD src0_sel:DWORD src1_sel:BYTE_0
	v_and_b32_e32 v8, 0xff, v72
	v_fma_f64 v[71:72], v[0:1], s[10:11], v[105:106]
	v_add_nc_u32_sdwa v125, v11, v128 dst_sel:DWORD dst_unused:UNUSED_PAD src0_sel:DWORD src1_sel:BYTE_0
	v_add_f64 v[10:11], v[9:10], v[91:92]
	v_fma_f64 v[91:92], v[6:7], s[10:11], v[113:114]
	v_add_lshl_u32 v16, v232, v8, 4
	v_add_f64 v[8:9], v[52:53], v[89:90]
	v_add_f64 v[52:53], v[69:70], v[85:86]
	v_fma_f64 v[69:70], v[2:3], s[8:9], v[101:102]
	v_fma_f64 v[89:90], v[4:5], s[8:9], v[107:108]
	;; [unrolled: 1-line block ×3, first 2 shown]
	v_add_lshl_u32 v1, v232, v95, 4
	v_add_lshl_u32 v0, v232, v103, 4
	v_fma_f64 v[83:84], v[97:98], s[10:11], v[119:120]
	v_add_f64 v[54:55], v[54:55], v[87:88]
	v_fma_f64 v[81:82], v[99:100], s[8:9], v[109:110]
	v_fma_f64 v[85:86], v[99:100], s[10:11], v[109:110]
	;; [unrolled: 1-line block ×12, first 2 shown]
	v_add_lshl_u32 v226, v232, v111, 4
	v_add_lshl_u32 v225, v232, v125, 4
	ds_write_b128 v16, v[52:55]
	ds_write_b128 v16, v[81:84] offset:272
	buffer_store_dword v16, off, s[60:63], 0 offset:36 ; 4-byte Folded Spill
	ds_write_b128 v16, v[85:88] offset:544
	ds_write_b128 v1, v[56:59]
	ds_write_b128 v1, v[69:72] offset:272
	buffer_store_dword v1, off, s[60:63], 0 offset:40 ; 4-byte Folded Spill
	ds_write_b128 v1, v[77:80] offset:544
	;; [unrolled: 4-line block ×3, first 2 shown]
	ds_write_b128 v226, v[73:76]
	ds_write_b128 v226, v[105:108] offset:272
	ds_write_b128 v226, v[113:116] offset:544
	ds_write_b128 v225, v[8:11]
	ds_write_b128 v225, v[117:120] offset:272
	ds_write_b128 v225, v[121:124] offset:544
	s_waitcnt lgkmcnt(0)
	s_waitcnt_vscnt null, 0x0
	s_barrier
	buffer_gl0_inv
	s_clause 0x3
	global_load_dwordx4 v[8:11], v65, s[2:3] offset:544
	global_load_dwordx4 v[52:55], v65, s[2:3] offset:560
	;; [unrolled: 1-line block ×4, first 2 shown]
	ds_read_b128 v[69:72], v227 offset:2448
	ds_read_b128 v[73:76], v227 offset:4896
	ds_read_b128 v[77:80], v227 offset:7344
	ds_read_b128 v[81:84], v227 offset:9792
	ds_read_b128 v[97:100], v227 offset:1632
	ds_read_b128 v[85:88], v227 offset:5712
	ds_read_b128 v[89:92], v227 offset:3264
	ds_read_b128 v[105:108], v227 offset:6528
	ds_read_b128 v[113:116], v227 offset:10608
	ds_read_b128 v[117:120], v227 offset:8976
	s_waitcnt vmcnt(3) lgkmcnt(9)
	v_mul_f64 v[0:1], v[71:72], v[10:11]
	v_mul_f64 v[2:3], v[69:70], v[10:11]
	s_waitcnt vmcnt(1) lgkmcnt(7)
	v_mul_f64 v[14:15], v[77:78], v[58:59]
	v_mul_f64 v[4:5], v[75:76], v[54:55]
	v_mul_f64 v[6:7], v[73:74], v[54:55]
	v_mul_f64 v[12:13], v[79:80], v[58:59]
	s_waitcnt vmcnt(0) lgkmcnt(6)
	v_mul_f64 v[93:94], v[83:84], v[62:63]
	s_waitcnt lgkmcnt(3)
	v_mul_f64 v[101:102], v[91:92], v[10:11]
	v_mul_f64 v[109:110], v[89:90], v[10:11]
	;; [unrolled: 1-line block ×3, first 2 shown]
	v_fma_f64 v[0:1], v[69:70], v[8:9], -v[0:1]
	v_fma_f64 v[2:3], v[71:72], v[8:9], v[2:3]
	v_fma_f64 v[14:15], v[79:80], v[56:57], v[14:15]
	v_mul_f64 v[79:80], v[85:86], v[54:55]
	ds_read_b128 v[69:72], v227 offset:4080
	v_fma_f64 v[4:5], v[73:74], v[52:53], -v[4:5]
	v_fma_f64 v[6:7], v[75:76], v[52:53], v[6:7]
	ds_read_b128 v[73:76], v227 offset:8160
	v_fma_f64 v[12:13], v[77:78], v[56:57], -v[12:13]
	v_mul_f64 v[77:78], v[87:88], v[54:55]
	v_fma_f64 v[121:122], v[81:82], v[60:61], -v[93:94]
	v_fma_f64 v[101:102], v[89:90], v[8:9], -v[101:102]
	v_fma_f64 v[109:110], v[91:92], v[8:9], v[109:110]
	v_fma_f64 v[66:67], v[83:84], v[60:61], v[66:67]
	;; [unrolled: 1-line block ×3, first 2 shown]
	s_waitcnt lgkmcnt(0)
	v_mul_f64 v[79:80], v[75:76], v[58:59]
	v_mul_f64 v[81:82], v[73:74], v[58:59]
	v_add_f64 v[125:126], v[6:7], -v[14:15]
	v_add_f64 v[129:130], v[4:5], -v[12:13]
	v_fma_f64 v[77:78], v[85:86], v[52:53], -v[77:78]
	v_add_f64 v[127:128], v[0:1], -v[121:122]
	v_add_f64 v[123:124], v[2:3], -v[66:67]
	v_fma_f64 v[135:136], v[73:74], v[56:57], -v[79:80]
	v_lshlrev_b32_e32 v79, 6, v64
	s_clause 0x1
	global_load_dwordx4 v[92:95], v79, s[2:3] offset:544
	global_load_dwordx4 v[88:91], v79, s[2:3] offset:560
	v_fma_f64 v[137:138], v[75:76], v[56:57], v[81:82]
	s_clause 0x1
	global_load_dwordx4 v[84:87], v79, s[2:3] offset:576
	global_load_dwordx4 v[80:83], v79, s[2:3] offset:592
	v_mul_f64 v[73:74], v[115:116], v[62:63]
	v_mul_f64 v[75:76], v[113:114], v[62:63]
	v_add_f64 v[145:146], v[77:78], -v[135:136]
	v_fma_f64 v[139:140], v[113:114], v[60:61], -v[73:74]
	v_fma_f64 v[141:142], v[115:116], v[60:61], v[75:76]
	v_add_f64 v[143:144], v[101:102], -v[139:140]
	s_waitcnt vmcnt(3)
	v_mul_f64 v[73:74], v[71:72], v[94:95]
	v_fma_f64 v[149:150], v[69:70], v[92:93], -v[73:74]
	v_mul_f64 v[69:70], v[69:70], v[94:95]
	v_fma_f64 v[151:152], v[71:72], v[92:93], v[69:70]
	s_waitcnt vmcnt(2)
	v_mul_f64 v[69:70], v[107:108], v[90:91]
	v_fma_f64 v[153:154], v[105:106], v[88:89], -v[69:70]
	v_mul_f64 v[69:70], v[105:106], v[90:91]
	v_add_f64 v[105:106], v[4:5], v[12:13]
	v_fma_f64 v[155:156], v[107:108], v[88:89], v[69:70]
	s_waitcnt vmcnt(1)
	v_mul_f64 v[69:70], v[119:120], v[86:87]
	v_fma_f64 v[157:158], v[117:118], v[84:85], -v[69:70]
	v_mul_f64 v[69:70], v[117:118], v[86:87]
	v_fma_f64 v[159:160], v[119:120], v[84:85], v[69:70]
	ds_read_b128 v[69:72], v227 offset:11424
	s_waitcnt vmcnt(0) lgkmcnt(0)
	v_mul_f64 v[73:74], v[71:72], v[82:83]
	v_fma_f64 v[161:162], v[69:70], v[80:81], -v[73:74]
	v_mul_f64 v[69:70], v[69:70], v[82:83]
	v_fma_f64 v[163:164], v[71:72], v[80:81], v[69:70]
	v_add_f64 v[69:70], v[0:1], -v[4:5]
	v_add_f64 v[71:72], v[121:122], -v[12:13]
	v_add_f64 v[113:114], v[69:70], v[71:72]
	v_add_f64 v[69:70], v[2:3], -v[6:7]
	v_add_f64 v[71:72], v[66:67], -v[14:15]
	v_add_f64 v[115:116], v[69:70], v[71:72]
	ds_read_b128 v[69:72], v227
	ds_read_b128 v[73:76], v227 offset:816
	s_waitcnt lgkmcnt(0)
	s_barrier
	buffer_gl0_inv
	v_fma_f64 v[117:118], v[105:106], -0.5, v[69:70]
	v_add_f64 v[105:106], v[6:7], v[14:15]
	v_fma_f64 v[119:120], v[105:106], -0.5, v[71:72]
	v_fma_f64 v[105:106], v[123:124], s[18:19], v[117:118]
	v_fma_f64 v[117:118], v[123:124], s[20:21], v[117:118]
	;; [unrolled: 1-line block ×10, first 2 shown]
	v_add_f64 v[117:118], v[0:1], v[121:122]
	v_fma_f64 v[107:108], v[115:116], s[22:23], v[107:108]
	v_fma_f64 v[115:116], v[115:116], s[22:23], v[119:120]
	v_add_f64 v[119:120], v[2:3], v[66:67]
	v_fma_f64 v[117:118], v[117:118], -0.5, v[69:70]
	v_add_f64 v[69:70], v[69:70], v[0:1]
	v_add_f64 v[0:1], v[4:5], -v[0:1]
	v_fma_f64 v[119:120], v[119:120], -0.5, v[71:72]
	v_add_f64 v[71:72], v[71:72], v[2:3]
	v_add_f64 v[2:3], v[6:7], -v[2:3]
	v_add_f64 v[4:5], v[69:70], v[4:5]
	v_add_f64 v[69:70], v[71:72], v[6:7]
	;; [unrolled: 1-line block ×3, first 2 shown]
	v_add_f64 v[12:13], v[12:13], -v[121:122]
	v_add_f64 v[6:7], v[69:70], v[14:15]
	v_add_f64 v[69:70], v[4:5], v[121:122]
	v_add_f64 v[4:5], v[14:15], -v[66:67]
	v_fma_f64 v[14:15], v[125:126], s[18:19], v[117:118]
	v_add_f64 v[0:1], v[0:1], v[12:13]
	v_add_f64 v[71:72], v[6:7], v[66:67]
	v_fma_f64 v[6:7], v[125:126], s[20:21], v[117:118]
	v_fma_f64 v[66:67], v[129:130], s[18:19], v[119:120]
	;; [unrolled: 1-line block ×3, first 2 shown]
	v_add_f64 v[2:3], v[2:3], v[4:5]
	v_fma_f64 v[4:5], v[123:124], s[0:1], v[6:7]
	v_fma_f64 v[6:7], v[123:124], s[16:17], v[14:15]
	;; [unrolled: 1-line block ×8, first 2 shown]
	v_add_f64 v[0:1], v[101:102], -v[77:78]
	v_add_f64 v[2:3], v[139:140], -v[135:136]
	;; [unrolled: 1-line block ×3, first 2 shown]
	v_add_f64 v[6:7], v[133:134], v[137:138]
	v_add_f64 v[12:13], v[109:110], -v[141:142]
	v_add_f64 v[14:15], v[133:134], -v[137:138]
	v_add_f64 v[0:1], v[0:1], v[2:3]
	v_add_f64 v[2:3], v[109:110], -v[133:134]
	v_fma_f64 v[6:7], v[6:7], -0.5, v[75:76]
	v_add_f64 v[2:3], v[2:3], v[4:5]
	v_add_f64 v[4:5], v[77:78], v[135:136]
	v_fma_f64 v[125:126], v[143:144], s[20:21], v[6:7]
	v_fma_f64 v[6:7], v[143:144], s[18:19], v[6:7]
	v_fma_f64 v[4:5], v[4:5], -0.5, v[73:74]
	v_fma_f64 v[127:128], v[145:146], s[16:17], v[125:126]
	v_fma_f64 v[6:7], v[145:146], s[0:1], v[6:7]
	;; [unrolled: 1-line block ×5, first 2 shown]
	v_add_f64 v[6:7], v[75:76], v[109:110]
	v_fma_f64 v[127:128], v[2:3], s[22:23], v[127:128]
	v_add_f64 v[2:3], v[109:110], v[141:142]
	v_fma_f64 v[66:67], v[14:15], s[0:1], v[66:67]
	v_fma_f64 v[4:5], v[14:15], s[16:17], v[4:5]
	v_add_f64 v[6:7], v[6:7], v[133:134]
	v_fma_f64 v[2:3], v[2:3], -0.5, v[75:76]
	v_fma_f64 v[125:126], v[0:1], s[22:23], v[66:67]
	v_fma_f64 v[129:130], v[0:1], s[22:23], v[4:5]
	v_add_f64 v[4:5], v[73:74], v[101:102]
	v_add_f64 v[0:1], v[101:102], v[139:140]
	;; [unrolled: 1-line block ×3, first 2 shown]
	v_add_f64 v[66:67], v[77:78], -v[101:102]
	v_add_f64 v[101:102], v[135:136], -v[139:140]
	v_add_f64 v[4:5], v[4:5], v[77:78]
	v_fma_f64 v[0:1], v[0:1], -0.5, v[73:74]
	v_add_f64 v[77:78], v[133:134], -v[109:110]
	v_add_f64 v[75:76], v[6:7], v[141:142]
	v_add_f64 v[66:67], v[66:67], v[101:102]
	v_add_f64 v[101:102], v[153:154], -v[157:158]
	v_add_f64 v[4:5], v[4:5], v[135:136]
	v_fma_f64 v[6:7], v[14:15], s[20:21], v[0:1]
	v_fma_f64 v[0:1], v[14:15], s[18:19], v[0:1]
	;; [unrolled: 1-line block ×4, first 2 shown]
	v_add_f64 v[73:74], v[4:5], v[139:140]
	v_add_f64 v[4:5], v[137:138], -v[141:142]
	v_fma_f64 v[0:1], v[12:13], s[16:17], v[0:1]
	v_fma_f64 v[6:7], v[12:13], s[0:1], v[6:7]
	;; [unrolled: 1-line block ×4, first 2 shown]
	v_add_f64 v[14:15], v[155:156], -v[159:160]
	ds_write_b128 v227, v[69:72]
	ds_write_b128 v227, v[73:76] offset:4080
	ds_write_b128 v227, v[105:108] offset:816
	;; [unrolled: 1-line block ×6, first 2 shown]
	v_add_f64 v[4:5], v[77:78], v[4:5]
	v_fma_f64 v[137:138], v[66:67], s[22:23], v[0:1]
	v_add_f64 v[0:1], v[149:150], -v[153:154]
	v_fma_f64 v[133:134], v[66:67], s[22:23], v[6:7]
	v_add_f64 v[6:7], v[155:156], v[159:160]
	v_add_f64 v[77:78], v[149:150], -v[161:162]
	v_fma_f64 v[139:140], v[4:5], s[22:23], v[2:3]
	v_add_f64 v[2:3], v[161:162], -v[157:158]
	v_fma_f64 v[135:136], v[4:5], s[22:23], v[12:13]
	v_add_f64 v[4:5], v[163:164], -v[159:160]
	v_fma_f64 v[6:7], v[6:7], -0.5, v[99:100]
	v_add_f64 v[12:13], v[151:152], -v[163:164]
	v_add_f64 v[0:1], v[0:1], v[2:3]
	v_add_f64 v[2:3], v[151:152], -v[155:156]
	v_fma_f64 v[109:110], v[77:78], s[20:21], v[6:7]
	v_fma_f64 v[6:7], v[77:78], s[18:19], v[6:7]
	v_add_f64 v[2:3], v[2:3], v[4:5]
	v_add_f64 v[4:5], v[153:154], v[157:158]
	v_fma_f64 v[109:110], v[101:102], s[16:17], v[109:110]
	v_fma_f64 v[6:7], v[101:102], s[0:1], v[6:7]
	v_fma_f64 v[4:5], v[4:5], -0.5, v[97:98]
	v_fma_f64 v[143:144], v[2:3], s[22:23], v[109:110]
	v_fma_f64 v[147:148], v[2:3], s[22:23], v[6:7]
	v_add_f64 v[6:7], v[99:100], v[151:152]
	v_add_f64 v[2:3], v[151:152], v[163:164]
	v_add_f64 v[109:110], v[155:156], -v[151:152]
	v_fma_f64 v[66:67], v[12:13], s[18:19], v[4:5]
	v_fma_f64 v[4:5], v[12:13], s[20:21], v[4:5]
	v_add_f64 v[6:7], v[6:7], v[155:156]
	v_fma_f64 v[2:3], v[2:3], -0.5, v[99:100]
	v_fma_f64 v[66:67], v[14:15], s[0:1], v[66:67]
	v_fma_f64 v[4:5], v[14:15], s[16:17], v[4:5]
	v_add_f64 v[6:7], v[6:7], v[159:160]
	v_fma_f64 v[141:142], v[0:1], s[22:23], v[66:67]
	v_fma_f64 v[145:146], v[0:1], s[22:23], v[4:5]
	v_add_f64 v[4:5], v[97:98], v[149:150]
	v_add_f64 v[0:1], v[149:150], v[161:162]
	v_add_f64 v[66:67], v[153:154], -v[149:150]
	v_add_f64 v[149:150], v[157:158], -v[161:162]
	v_add_f64 v[99:100], v[6:7], v[163:164]
	v_add_f64 v[4:5], v[4:5], v[153:154]
	v_fma_f64 v[0:1], v[0:1], -0.5, v[97:98]
	v_add_f64 v[66:67], v[66:67], v[149:150]
	v_add_f64 v[4:5], v[4:5], v[157:158]
	v_fma_f64 v[6:7], v[14:15], s[20:21], v[0:1]
	v_fma_f64 v[0:1], v[14:15], s[18:19], v[0:1]
	v_fma_f64 v[14:15], v[101:102], s[18:19], v[2:3]
	v_fma_f64 v[2:3], v[101:102], s[20:21], v[2:3]
	v_add_f64 v[97:98], v[4:5], v[161:162]
	v_add_f64 v[4:5], v[159:160], -v[163:164]
	v_fma_f64 v[6:7], v[12:13], s[0:1], v[6:7]
	v_fma_f64 v[0:1], v[12:13], s[16:17], v[0:1]
	;; [unrolled: 1-line block ×4, first 2 shown]
	v_add_f64 v[4:5], v[109:110], v[4:5]
	v_fma_f64 v[149:150], v[66:67], s[22:23], v[6:7]
	v_fma_f64 v[153:154], v[66:67], s[22:23], v[0:1]
	v_lshlrev_b32_e32 v0, 5, v224
	v_add_co_u32 v1, s0, s2, v65
	v_fma_f64 v[151:152], v[4:5], s[22:23], v[12:13]
	v_fma_f64 v[155:156], v[4:5], s[22:23], v[2:3]
	v_add_co_ci_u32_e64 v2, null, s3, 0, s0
	v_sub_co_u32 v3, s0, v1, v0
	ds_write_b128 v227, v[133:136] offset:5712
	ds_write_b128 v227, v[137:140] offset:6528
	;; [unrolled: 1-line block ×8, first 2 shown]
	v_subrev_co_ci_u32_e64 v2, s0, 0, v2, s0
	v_add_co_u32 v0, s0, 0x800, v3
	s_waitcnt lgkmcnt(0)
	v_add_co_ci_u32_e64 v1, s0, 0, v2, s0
	s_barrier
	buffer_gl0_inv
	global_load_dwordx4 v[64:67], v[0:1], off offset:1760
	v_add_co_u32 v0, s0, 0xee0, v3
	v_add_co_ci_u32_e64 v1, s0, 0, v2, s0
	global_load_dwordx4 v[76:79], v[0:1], off offset:16
	v_lshlrev_b32_e32 v0, 5, v68
	v_add_co_u32 v2, s0, s2, v0
	v_add_co_ci_u32_e64 v3, null, s3, 0, s0
	v_add_co_u32 v0, s0, 0x800, v2
	v_add_co_ci_u32_e64 v1, s0, 0, v3, s0
	global_load_dwordx4 v[68:71], v[0:1], off offset:1760
	v_add_co_u32 v0, s0, 0xee0, v2
	v_add_co_ci_u32_e64 v1, s0, 0, v3, s0
	global_load_dwordx4 v[72:75], v[0:1], off offset:16
	ds_read_b128 v[97:100], v227 offset:4080
	ds_read_b128 v[124:127], v227 offset:3264
	;; [unrolled: 1-line block ×4, first 2 shown]
	s_waitcnt vmcnt(3) lgkmcnt(3)
	v_mul_f64 v[0:1], v[99:100], v[66:67]
	v_mul_f64 v[2:3], v[97:98], v[66:67]
	s_waitcnt vmcnt(2) lgkmcnt(1)
	v_mul_f64 v[4:5], v[107:108], v[78:79]
	v_mul_f64 v[6:7], v[105:106], v[78:79]
	v_fma_f64 v[0:1], v[97:98], v[64:65], -v[0:1]
	v_fma_f64 v[2:3], v[99:100], v[64:65], v[2:3]
	v_fma_f64 v[4:5], v[105:106], v[76:77], -v[4:5]
	v_fma_f64 v[6:7], v[107:108], v[76:77], v[6:7]
	ds_read_b128 v[97:100], v227 offset:4896
	ds_read_b128 v[105:108], v227 offset:5712
	s_waitcnt vmcnt(1) lgkmcnt(1)
	v_mul_f64 v[12:13], v[99:100], v[70:71]
	v_mul_f64 v[14:15], v[97:98], v[70:71]
	v_add_f64 v[144:145], v[0:1], v[4:5]
	v_add_f64 v[146:147], v[2:3], v[6:7]
	v_fma_f64 v[12:13], v[97:98], v[68:69], -v[12:13]
	s_waitcnt vmcnt(0)
	v_mul_f64 v[97:98], v[115:116], v[74:75]
	v_fma_f64 v[14:15], v[99:100], v[68:69], v[14:15]
	v_fma_f64 v[132:133], v[113:114], v[72:73], -v[97:98]
	v_mul_f64 v[97:98], v[113:114], v[74:75]
	v_fma_f64 v[134:135], v[115:116], v[72:73], v[97:98]
	v_add_co_u32 v98, s0, s2, v96
	v_add_co_ci_u32_e64 v99, null, s3, 0, s0
	v_add_co_u32 v96, s0, 0x800, v98
	v_add_co_ci_u32_e64 v97, s0, 0, v99, s0
	v_add_co_u32 v98, s0, 0xee0, v98
	v_add_co_ci_u32_e64 v99, s0, 0, v99, s0
	s_clause 0x1
	global_load_dwordx4 v[100:103], v[96:97], off offset:1760
	global_load_dwordx4 v[96:99], v[98:99], off offset:16
	s_waitcnt vmcnt(1) lgkmcnt(0)
	v_mul_f64 v[109:110], v[107:108], v[102:103]
	v_fma_f64 v[136:137], v[105:106], v[100:101], -v[109:110]
	v_mul_f64 v[105:106], v[105:106], v[102:103]
	v_fma_f64 v[138:139], v[107:108], v[100:101], v[105:106]
	ds_read_b128 v[105:108], v227 offset:9792
	ds_read_b128 v[113:116], v227 offset:10608
	s_waitcnt vmcnt(0) lgkmcnt(1)
	v_mul_f64 v[109:110], v[107:108], v[98:99]
	v_fma_f64 v[140:141], v[105:106], v[96:97], -v[109:110]
	v_mul_f64 v[105:106], v[105:106], v[98:99]
	v_fma_f64 v[142:143], v[107:108], v[96:97], v[105:106]
	v_add_co_u32 v106, s0, s2, v104
	v_add_co_ci_u32_e64 v107, null, s3, 0, s0
	v_add_co_u32 v104, s0, 0x800, v106
	v_add_co_ci_u32_e64 v105, s0, 0, v107, s0
	v_add_co_u32 v106, s0, 0xee0, v106
	v_add_co_ci_u32_e64 v107, s0, 0, v107, s0
	s_clause 0x1
	global_load_dwordx4 v[108:111], v[104:105], off offset:1760
	global_load_dwordx4 v[104:107], v[106:107], off offset:16
	ds_read_b128 v[117:120], v227 offset:6528
	ds_read_b128 v[128:131], v227 offset:7344
	s_waitcnt vmcnt(1) lgkmcnt(1)
	v_mul_f64 v[121:122], v[119:120], v[110:111]
	v_fma_f64 v[180:181], v[117:118], v[108:109], -v[121:122]
	v_mul_f64 v[117:118], v[117:118], v[110:111]
	v_fma_f64 v[168:169], v[119:120], v[108:109], v[117:118]
	s_waitcnt vmcnt(0)
	v_mul_f64 v[117:118], v[115:116], v[106:107]
	v_fma_f64 v[182:183], v[113:114], v[104:105], -v[117:118]
	v_mul_f64 v[113:114], v[113:114], v[106:107]
	v_fma_f64 v[170:171], v[115:116], v[104:105], v[113:114]
	v_add_co_u32 v114, s0, s2, v112
	v_add_co_ci_u32_e64 v115, null, s3, 0, s0
	v_add_co_u32 v112, s0, 0x800, v114
	v_add_co_ci_u32_e64 v113, s0, 0, v115, s0
	v_add_co_u32 v114, s0, 0xee0, v114
	v_add_co_ci_u32_e64 v115, s0, 0, v115, s0
	s_clause 0x1
	global_load_dwordx4 v[116:119], v[112:113], off offset:1760
	global_load_dwordx4 v[112:115], v[114:115], off offset:16
	s_waitcnt vmcnt(1) lgkmcnt(0)
	v_mul_f64 v[120:121], v[130:131], v[118:119]
	v_fma_f64 v[184:185], v[128:129], v[116:117], -v[120:121]
	v_mul_f64 v[120:121], v[128:129], v[118:119]
	v_fma_f64 v[186:187], v[130:131], v[116:117], v[120:121]
	ds_read_b128 v[120:123], v227 offset:11424
	s_waitcnt vmcnt(0) lgkmcnt(0)
	v_mul_f64 v[128:129], v[122:123], v[114:115]
	v_fma_f64 v[188:189], v[120:121], v[112:113], -v[128:129]
	v_mul_f64 v[120:121], v[120:121], v[114:115]
	v_fma_f64 v[190:191], v[122:123], v[112:113], v[120:121]
	ds_read_b128 v[120:123], v227
	ds_read_b128 v[128:131], v227 offset:816
	s_waitcnt lgkmcnt(1)
	v_fma_f64 v[144:145], v[144:145], -0.5, v[120:121]
	v_fma_f64 v[146:147], v[146:147], -0.5, v[122:123]
	v_add_f64 v[122:123], v[122:123], v[2:3]
	v_add_f64 v[120:121], v[120:121], v[0:1]
	v_add_f64 v[2:3], v[2:3], -v[6:7]
	v_add_f64 v[0:1], v[0:1], -v[4:5]
	v_add_f64 v[122:123], v[122:123], v[6:7]
	v_add_f64 v[120:121], v[120:121], v[4:5]
	v_fma_f64 v[176:177], v[2:3], s[8:9], v[144:145]
	v_fma_f64 v[164:165], v[2:3], s[10:11], v[144:145]
	;; [unrolled: 1-line block ×4, first 2 shown]
	v_add_f64 v[0:1], v[12:13], v[132:133]
	v_add_f64 v[2:3], v[14:15], v[134:135]
	s_waitcnt lgkmcnt(0)
	v_add_f64 v[4:5], v[130:131], v[14:15]
	v_add_f64 v[6:7], v[128:129], v[12:13]
	v_add_f64 v[14:15], v[14:15], -v[134:135]
	v_fma_f64 v[0:1], v[0:1], -0.5, v[128:129]
	v_fma_f64 v[2:3], v[2:3], -0.5, v[130:131]
	v_add_f64 v[162:163], v[4:5], v[134:135]
	v_add_f64 v[4:5], v[12:13], -v[132:133]
	v_add_f64 v[160:161], v[6:7], v[132:133]
	ds_read_b128 v[128:131], v227 offset:1632
	ds_read_b128 v[132:135], v227 offset:2448
	v_add_f64 v[12:13], v[138:139], -v[142:143]
	v_fma_f64 v[144:145], v[14:15], s[8:9], v[0:1]
	v_fma_f64 v[148:149], v[14:15], s[10:11], v[0:1]
	v_add_f64 v[0:1], v[136:137], v[140:141]
	v_fma_f64 v[146:147], v[4:5], s[10:11], v[2:3]
	v_fma_f64 v[150:151], v[4:5], s[8:9], v[2:3]
	v_add_f64 v[2:3], v[138:139], v[142:143]
	s_waitcnt lgkmcnt(1)
	v_add_f64 v[4:5], v[130:131], v[138:139]
	v_add_f64 v[6:7], v[128:129], v[136:137]
	v_fma_f64 v[0:1], v[0:1], -0.5, v[128:129]
	v_fma_f64 v[2:3], v[2:3], -0.5, v[130:131]
	v_add_f64 v[154:155], v[4:5], v[142:143]
	v_add_f64 v[4:5], v[136:137], -v[140:141]
	v_add_f64 v[152:153], v[6:7], v[140:141]
	s_waitcnt lgkmcnt(0)
	v_add_f64 v[6:7], v[132:133], v[180:181]
	ds_write_b128 v235, v[120:123]
	ds_write_b128 v235, v[160:163] offset:816
	ds_write_b128 v235, v[152:155] offset:1632
	;; [unrolled: 1-line block ×6, first 2 shown]
	v_fma_f64 v[156:157], v[12:13], s[8:9], v[0:1]
	v_fma_f64 v[172:173], v[12:13], s[10:11], v[0:1]
	;; [unrolled: 1-line block ×4, first 2 shown]
	v_add_f64 v[0:1], v[180:181], v[182:183]
	v_add_f64 v[2:3], v[168:169], v[170:171]
	;; [unrolled: 1-line block ×3, first 2 shown]
	v_add_f64 v[12:13], v[168:169], -v[170:171]
	v_add_f64 v[168:169], v[6:7], v[182:183]
	v_add_f64 v[6:7], v[124:125], v[184:185]
	v_fma_f64 v[0:1], v[0:1], -0.5, v[132:133]
	v_fma_f64 v[2:3], v[2:3], -0.5, v[134:135]
	v_add_f64 v[170:171], v[4:5], v[170:171]
	v_add_f64 v[4:5], v[180:181], -v[182:183]
	v_add_f64 v[132:133], v[6:7], v[188:189]
	v_fma_f64 v[140:141], v[12:13], s[8:9], v[0:1]
	v_fma_f64 v[136:137], v[12:13], s[10:11], v[0:1]
	v_add_f64 v[0:1], v[184:185], v[188:189]
	v_fma_f64 v[142:143], v[4:5], s[10:11], v[2:3]
	v_fma_f64 v[138:139], v[4:5], s[8:9], v[2:3]
	v_add_f64 v[2:3], v[186:187], v[190:191]
	v_add_f64 v[4:5], v[126:127], v[186:187]
	v_add_f64 v[12:13], v[186:187], -v[190:191]
	v_fma_f64 v[0:1], v[0:1], -0.5, v[124:125]
	v_fma_f64 v[2:3], v[2:3], -0.5, v[126:127]
	v_add_f64 v[134:135], v[4:5], v[190:191]
	v_add_f64 v[4:5], v[184:185], -v[188:189]
	v_fma_f64 v[128:129], v[12:13], s[8:9], v[0:1]
	v_fma_f64 v[124:125], v[12:13], s[10:11], v[0:1]
	v_lshlrev_b32_e32 v0, 4, v224
	v_fma_f64 v[130:131], v[4:5], s[10:11], v[2:3]
	v_fma_f64 v[126:127], v[4:5], s[8:9], v[2:3]
	v_add_nc_u32_e32 v197, v0, v221
	buffer_store_dword v0, off, s[60:63], 0 offset:44 ; 4-byte Folded Spill
	ds_write_b128 v197, v[156:159] offset:5712
	ds_write_b128 v197, v[172:175] offset:9792
	;; [unrolled: 1-line block ×8, first 2 shown]
	s_waitcnt lgkmcnt(0)
	s_waitcnt_vscnt null, 0x0
	s_barrier
	buffer_gl0_inv
	s_and_saveexec_b32 s1, vcc_lo
	s_cbranch_execz .LBB0_9
; %bb.8:
	v_add_co_u32 v198, s0, s12, v234
	v_add_co_ci_u32_e64 v199, null, s13, 0, s0
	v_mov_b32_e32 v16, v213
	v_add_co_u32 v0, s0, 0x2800, v198
	v_add_co_ci_u32_e64 v1, s0, 0, v199, s0
	v_mov_b32_e32 v17, v214
	v_mov_b32_e32 v18, v215
	;; [unrolled: 1-line block ×3, first 2 shown]
	global_load_dwordx4 v[182:185], v[0:1], off offset:2000
	v_add_co_u32 v0, s0, 0x2fd0, v198
	v_add_co_ci_u32_e64 v1, s0, 0, v199, s0
	s_clause 0x1
	global_load_dwordx4 v[186:189], v[0:1], off offset:720
	global_load_dwordx4 v[190:193], v[0:1], off offset:1440
	v_add_co_u32 v0, s0, 0x3800, v198
	v_add_co_ci_u32_e64 v1, s0, 0, v199, s0
	global_load_dwordx4 v[200:203], v[0:1], off offset:64
	buffer_store_dword v205, off, s[60:63], 0 offset:48 ; 4-byte Folded Spill
	buffer_store_dword v206, off, s[60:63], 0 offset:52 ; 4-byte Folded Spill
	;; [unrolled: 1-line block ×4, first 2 shown]
	s_clause 0x1
	global_load_dwordx4 v[204:207], v[0:1], off offset:784
	global_load_dwordx4 v[208:211], v[0:1], off offset:1504
	v_add_co_u32 v0, s0, 0x4000, v198
	v_add_co_ci_u32_e64 v1, s0, 0, v199, s0
	s_clause 0x2
	global_load_dwordx4 v[212:215], v[0:1], off offset:176
	global_load_dwordx4 v[216:219], v[0:1], off offset:896
	;; [unrolled: 1-line block ×3, first 2 shown]
	v_add_co_u32 v0, s0, 0x4800, v198
	v_add_co_ci_u32_e64 v1, s0, 0, v199, s0
	ds_read_b128 v[240:243], v235
	ds_read_b128 v[248:251], v235 offset:720
	ds_read_b128 v[252:255], v235 offset:1440
	global_load_dwordx4 v[244:247], v[0:1], off offset:288
	s_waitcnt vmcnt(9) lgkmcnt(2)
	v_mul_f64 v[2:3], v[242:243], v[184:185]
	v_mul_f64 v[4:5], v[240:241], v[184:185]
	s_waitcnt vmcnt(8) lgkmcnt(1)
	v_mul_f64 v[6:7], v[250:251], v[188:189]
	v_mul_f64 v[12:13], v[248:249], v[188:189]
	v_fma_f64 v[180:181], v[240:241], v[182:183], -v[2:3]
	v_fma_f64 v[182:183], v[242:243], v[182:183], v[4:5]
	global_load_dwordx4 v[240:243], v[0:1], off offset:1008
	s_waitcnt vmcnt(8) lgkmcnt(0)
	v_mul_f64 v[2:3], v[254:255], v[192:193]
	v_mul_f64 v[4:5], v[252:253], v[192:193]
	v_fma_f64 v[184:185], v[248:249], v[186:187], -v[6:7]
	v_fma_f64 v[186:187], v[250:251], v[186:187], v[12:13]
	ds_read_b128 v[192:195], v235 offset:2160
	ds_read_b128 v[248:251], v235 offset:2880
	;; [unrolled: 1-line block ×3, first 2 shown]
	v_fma_f64 v[188:189], v[252:253], v[190:191], -v[2:3]
	v_fma_f64 v[190:191], v[254:255], v[190:191], v[4:5]
	global_load_dwordx4 v[252:255], v[0:1], off offset:1728
	s_waitcnt vmcnt(8) lgkmcnt(2)
	v_mul_f64 v[2:3], v[194:195], v[202:203]
	v_mul_f64 v[4:5], v[192:193], v[202:203]
	s_waitcnt vmcnt(7) lgkmcnt(1)
	v_mul_f64 v[0:1], v[250:251], v[206:207]
	v_fma_f64 v[192:193], v[192:193], v[200:201], -v[2:3]
	v_mul_f64 v[2:3], v[248:249], v[206:207]
	v_fma_f64 v[194:195], v[194:195], v[200:201], v[4:5]
	v_add_co_u32 v4, s0, 0x5000, v198
	v_add_co_ci_u32_e64 v5, s0, 0, v199, s0
	v_fma_f64 v[248:249], v[248:249], v[204:205], -v[0:1]
	ds_read_b128 v[200:203], v235 offset:3600
	v_add_co_u32 v12, s0, 0x5800, v198
	v_add_co_ci_u32_e64 v13, s0, 0, v199, s0
	v_fma_f64 v[250:251], v[250:251], v[204:205], v[2:3]
	global_load_dwordx4 v[204:207], v[4:5], off offset:400
	s_waitcnt vmcnt(7) lgkmcnt(0)
	v_mul_f64 v[0:1], v[202:203], v[210:211]
	v_mul_f64 v[2:3], v[200:201], v[210:211]
	v_fma_f64 v[200:201], v[200:201], v[208:209], -v[0:1]
	v_fma_f64 v[202:203], v[202:203], v[208:209], v[2:3]
	ds_read_b128 v[208:211], v235 offset:4320
	s_waitcnt vmcnt(6) lgkmcnt(0)
	v_mul_f64 v[0:1], v[210:211], v[214:215]
	v_mul_f64 v[2:3], v[208:209], v[214:215]
	v_fma_f64 v[208:209], v[208:209], v[212:213], -v[0:1]
	v_fma_f64 v[210:211], v[210:211], v[212:213], v[2:3]
	ds_read_b128 v[212:215], v235 offset:5040
	;; [unrolled: 6-line block ×5, first 2 shown]
	s_waitcnt vmcnt(2) lgkmcnt(0)
	v_mul_f64 v[0:1], v[246:247], v[242:243]
	v_mul_f64 v[2:3], v[244:245], v[242:243]
	v_fma_f64 v[242:243], v[244:245], v[240:241], -v[0:1]
	v_fma_f64 v[244:245], v[246:247], v[240:241], v[2:3]
	v_mov_b32_e32 v240, v221
	ds_read_b128 v[220:223], v235 offset:7920
	s_waitcnt vmcnt(1) lgkmcnt(0)
	v_mul_f64 v[0:1], v[222:223], v[254:255]
	v_mul_f64 v[2:3], v[220:221], v[254:255]
	v_fma_f64 v[220:221], v[220:221], v[252:253], -v[0:1]
	v_fma_f64 v[222:223], v[222:223], v[252:253], v[2:3]
	ds_read_b128 v[252:255], v235 offset:8640
	s_waitcnt vmcnt(0) lgkmcnt(0)
	v_mul_f64 v[0:1], v[254:255], v[206:207]
	v_mul_f64 v[2:3], v[252:253], v[206:207]
	v_fma_f64 v[252:253], v[252:253], v[204:205], -v[0:1]
	v_fma_f64 v[254:255], v[254:255], v[204:205], v[2:3]
	global_load_dwordx4 v[204:207], v[4:5], off offset:1120
	s_waitcnt vmcnt(0)
	v_mul_f64 v[0:1], v[230:231], v[206:207]
	v_mul_f64 v[2:3], v[228:229], v[206:207]
	v_fma_f64 v[228:229], v[228:229], v[204:205], -v[0:1]
	v_fma_f64 v[230:231], v[230:231], v[204:205], v[2:3]
	global_load_dwordx4 v[204:207], v[4:5], off offset:1840
	ds_read_b128 v[0:3], v235 offset:10080
	s_waitcnt vmcnt(0) lgkmcnt(0)
	v_mul_f64 v[4:5], v[2:3], v[206:207]
	v_mul_f64 v[6:7], v[0:1], v[206:207]
	v_fma_f64 v[0:1], v[0:1], v[204:205], -v[4:5]
	v_fma_f64 v[2:3], v[2:3], v[204:205], v[6:7]
	global_load_dwordx4 v[204:207], v[12:13], off offset:512
	ds_read_b128 v[4:7], v235 offset:10800
	s_waitcnt vmcnt(0) lgkmcnt(0)
	v_mul_f64 v[14:15], v[6:7], v[206:207]
	v_mul_f64 v[198:199], v[4:5], v[206:207]
	v_fma_f64 v[4:5], v[4:5], v[204:205], -v[14:15]
	v_fma_f64 v[6:7], v[6:7], v[204:205], v[198:199]
	global_load_dwordx4 v[204:207], v[12:13], off offset:1232
	ds_read_b128 v[12:15], v235 offset:11520
	ds_write_b128 v235, v[180:183]
	ds_write_b128 v235, v[184:187] offset:720
	ds_write_b128 v235, v[188:191] offset:1440
	;; [unrolled: 1-line block ×6, first 2 shown]
	s_waitcnt vmcnt(0) lgkmcnt(7)
	v_mul_f64 v[198:199], v[14:15], v[206:207]
	v_mul_f64 v[206:207], v[12:13], v[206:207]
	v_fma_f64 v[12:13], v[12:13], v[204:205], -v[198:199]
	v_fma_f64 v[14:15], v[14:15], v[204:205], v[206:207]
	s_clause 0x3
	buffer_load_dword v205, off, s[60:63], 0 offset:48
	buffer_load_dword v206, off, s[60:63], 0 offset:52
	;; [unrolled: 1-line block ×4, first 2 shown]
	ds_write_b128 v235, v[212:215] offset:5040
	ds_write_b128 v235, v[216:219] offset:5760
	v_mov_b32_e32 v216, v19
	v_mov_b32_e32 v215, v18
	;; [unrolled: 1-line block ×4, first 2 shown]
	ds_write_b128 v235, v[236:239] offset:6480
	ds_write_b128 v235, v[242:245] offset:7200
	;; [unrolled: 1-line block ×3, first 2 shown]
	v_mov_b32_e32 v221, v240
	ds_write_b128 v235, v[252:255] offset:8640
	ds_write_b128 v235, v[228:231] offset:9360
	;; [unrolled: 1-line block ×5, first 2 shown]
.LBB0_9:
	s_or_b32 exec_lo, exec_lo, s1
	s_waitcnt vmcnt(0) lgkmcnt(0)
	s_waitcnt_vscnt null, 0x0
	s_barrier
	buffer_gl0_inv
	s_and_saveexec_b32 s0, vcc_lo
	s_cbranch_execz .LBB0_11
; %bb.10:
	ds_read_b128 v[120:123], v235
	ds_read_b128 v[176:179], v235 offset:720
	ds_read_b128 v[164:167], v235 offset:1440
	ds_read_b128 v[160:163], v235 offset:2160
	ds_read_b128 v[144:147], v235 offset:2880
	ds_read_b128 v[148:151], v235 offset:3600
	ds_read_b128 v[152:155], v235 offset:4320
	ds_read_b128 v[156:159], v235 offset:5040
	ds_read_b128 v[172:175], v235 offset:5760
	ds_read_b128 v[168:171], v235 offset:6480
	ds_read_b128 v[140:143], v235 offset:7200
	ds_read_b128 v[136:139], v235 offset:7920
	ds_read_b128 v[132:135], v235 offset:8640
	ds_read_b128 v[128:131], v235 offset:9360
	ds_read_b128 v[124:127], v235 offset:10080
	ds_read_b128 v[205:208], v235 offset:10800
	ds_read_b128 v[213:216], v235 offset:11520
.LBB0_11:
	s_or_b32 exec_lo, exec_lo, s0
	v_add_nc_u32_e32 v198, 0x660, v197
	v_add_nc_u32_e32 v195, 0x990, v197
	;; [unrolled: 1-line block ×3, first 2 shown]
	s_waitcnt lgkmcnt(0)
	s_barrier
	buffer_gl0_inv
	s_and_saveexec_b32 s33, vcc_lo
	s_cbranch_execz .LBB0_13
; %bb.12:
	v_add_f64 v[0:1], v[122:123], v[178:179]
	v_add_f64 v[2:3], v[120:121], v[176:177]
	v_mov_b32_e32 v238, v221
	v_add_f64 v[221:222], v[176:177], -v[213:214]
	v_add_f64 v[209:210], v[178:179], -v[215:216]
	s_mov_b32 s0, 0xacd6c6b4
	s_mov_b32 s1, 0xbfc7851a
	v_add_f64 v[188:189], v[164:165], -v[205:206]
	v_add_f64 v[219:220], v[178:179], v[215:216]
	v_add_f64 v[186:187], v[166:167], -v[207:208]
	v_add_f64 v[217:218], v[176:177], v[213:214]
	s_mov_b32 s8, 0x5d8e7cdc
	s_mov_b32 s2, 0x7faef3
	;; [unrolled: 1-line block ×4, first 2 shown]
	buffer_store_dword v194, off, s[60:63], 0 offset:68 ; 4-byte Folded Spill
	buffer_store_dword v195, off, s[60:63], 0 offset:72 ; 4-byte Folded Spill
	;; [unrolled: 1-line block ×3, first 2 shown]
	v_mov_b32_e32 v236, v224
	buffer_store_dword v225, off, s[60:63], 0 offset:48 ; 4-byte Folded Spill
	buffer_store_dword v226, off, s[60:63], 0 offset:64 ; 4-byte Folded Spill
	v_mov_b32_e32 v226, v208
	v_add_f64 v[194:195], v[160:161], -v[124:125]
	v_add_f64 v[199:200], v[166:167], v[207:208]
	v_add_f64 v[0:1], v[0:1], v[166:167]
	;; [unrolled: 1-line block ×3, first 2 shown]
	v_add_f64 v[192:193], v[162:163], -v[126:127]
	v_mul_f64 v[4:5], v[221:222], s[0:1]
	v_mul_f64 v[6:7], v[209:210], s[0:1]
	v_add_f64 v[197:198], v[164:165], v[205:206]
	v_mov_b32_e32 v225, v207
	v_mul_f64 v[12:13], v[188:189], s[8:9]
	v_mov_b32_e32 v224, v206
	v_mul_f64 v[228:229], v[186:187], s[8:9]
	v_mov_b32_e32 v223, v205
	s_mov_b32 s18, 0x4363dd80
	s_mov_b32 s10, 0x370991
	;; [unrolled: 1-line block ×4, first 2 shown]
	v_mov_b32_e32 v16, v213
	v_add_f64 v[178:179], v[172:173], -v[168:169]
	v_add_f64 v[176:177], v[174:175], v[170:171]
	v_add_f64 v[166:167], v[144:145], -v[128:129]
	v_add_f64 v[203:204], v[162:163], v[126:127]
	v_add_f64 v[201:202], v[160:161], v[124:125]
	v_mov_b32_e32 v17, v214
	v_add_f64 v[0:1], v[0:1], v[162:163]
	v_add_f64 v[2:3], v[2:3], v[160:161]
	v_add_f64 v[162:163], v[174:175], -v[170:171]
	v_fma_f64 v[14:15], v[219:220], s[2:3], v[4:5]
	v_fma_f64 v[205:206], v[217:218], s[2:3], -v[6:7]
	v_fma_f64 v[4:5], v[219:220], s[2:3], -v[4:5]
	v_fma_f64 v[6:7], v[217:218], s[2:3], v[6:7]
	v_add_f64 v[160:161], v[172:173], v[168:169]
	v_mul_f64 v[230:231], v[192:193], s[18:19]
	v_fma_f64 v[239:240], v[199:200], s[10:11], v[12:13]
	v_fma_f64 v[241:242], v[197:198], s[10:11], -v[228:229]
	v_fma_f64 v[12:13], v[199:200], s[10:11], -v[12:13]
	v_mov_b32_e32 v18, v215
	v_mov_b32_e32 v19, v216
	v_add_f64 v[215:216], v[146:147], v[130:131]
	s_mov_b32 s16, 0x910ea3b9
	s_mov_b32 s20, 0x2a9d6da3
	;; [unrolled: 1-line block ×4, first 2 shown]
	v_add_f64 v[180:181], v[156:157], -v[140:141]
	v_add_f64 v[184:185], v[152:153], -v[136:137]
	v_add_f64 v[182:183], v[154:155], v[138:139]
	v_add_f64 v[0:1], v[0:1], v[146:147]
	v_add_f64 v[2:3], v[2:3], v[144:145]
	v_add_f64 v[190:191], v[148:149], -v[132:133]
	v_add_f64 v[14:15], v[122:123], v[14:15]
	v_add_f64 v[243:244], v[120:121], v[205:206]
	;; [unrolled: 1-line block ×5, first 2 shown]
	v_add_f64 v[211:212], v[150:151], -v[134:135]
	v_add_f64 v[213:214], v[144:145], v[128:129]
	v_add_f64 v[207:208], v[154:155], -v[138:139]
	v_add_f64 v[205:206], v[148:149], v[132:133]
	v_mul_f64 v[144:145], v[166:167], s[20:21]
	s_mov_b32 s28, 0x6c9a05f6
	s_mov_b32 s22, 0x75d4884
	;; [unrolled: 1-line block ×9, first 2 shown]
	v_add_f64 v[0:1], v[0:1], v[150:151]
	v_add_f64 v[2:3], v[2:3], v[148:149]
	s_mov_b32 s27, 0x3fdc86fa
	v_add_f64 v[14:15], v[239:240], v[14:15]
	v_add_f64 v[150:151], v[241:242], v[243:244]
	;; [unrolled: 1-line block ×3, first 2 shown]
	s_mov_b32 s48, 0xeb564b22
	s_mov_b32 s36, 0xc61f0d01
	;; [unrolled: 1-line block ×9, first 2 shown]
	v_mul_f64 v[241:242], v[194:195], s[40:41]
	s_mov_b32 s46, s28
	s_mov_b32 s45, 0xbfd71e95
	;; [unrolled: 1-line block ×3, first 2 shown]
	v_mul_f64 v[245:246], v[184:185], s[0:1]
	v_mul_f64 v[243:244], v[211:212], s[44:45]
	;; [unrolled: 1-line block ×3, first 2 shown]
	v_add_f64 v[0:1], v[0:1], v[154:155]
	v_add_f64 v[2:3], v[2:3], v[152:153]
	;; [unrolled: 1-line block ×3, first 2 shown]
	v_mul_f64 v[249:250], v[180:181], s[20:21]
	v_mul_f64 v[253:254], v[178:179], s[38:39]
	s_mov_b32 s43, 0x3feec746
	s_mov_b32 s42, s38
	;; [unrolled: 1-line block ×8, first 2 shown]
	v_add_f64 v[0:1], v[0:1], v[158:159]
	v_add_f64 v[2:3], v[2:3], v[156:157]
	;; [unrolled: 1-line block ×4, first 2 shown]
	v_mul_f64 v[174:175], v[194:195], s[18:19]
	v_add_f64 v[172:173], v[146:147], -v[130:131]
	v_fma_f64 v[146:147], v[197:198], s[10:11], v[228:229]
	v_mul_f64 v[228:229], v[221:222], s[18:19]
	v_add_f64 v[0:1], v[0:1], v[170:171]
	v_add_f64 v[2:3], v[2:3], v[168:169]
	v_add_f64 v[168:169], v[158:159], -v[142:143]
	v_add_f64 v[170:171], v[152:153], v[136:137]
	v_add_f64 v[152:153], v[156:157], v[140:141]
	v_fma_f64 v[148:149], v[203:204], s[16:17], v[174:175]
	v_fma_f64 v[156:157], v[201:202], s[16:17], -v[230:231]
	v_mul_f64 v[12:13], v[172:173], s[20:21]
	v_fma_f64 v[158:159], v[203:204], s[16:17], -v[174:175]
	v_add_f64 v[6:7], v[146:147], v[6:7]
	v_fma_f64 v[174:175], v[201:202], s[16:17], v[230:231]
	v_mul_f64 v[146:147], v[190:191], s[28:29]
	v_mul_f64 v[230:231], v[188:189], s[30:31]
	v_fma_f64 v[239:240], v[219:220], s[16:17], v[228:229]
	v_add_f64 v[0:1], v[0:1], v[142:143]
	v_add_f64 v[2:3], v[2:3], v[140:141]
	v_mul_f64 v[251:252], v[168:169], s[20:21]
	v_add_f64 v[14:15], v[148:149], v[14:15]
	v_fma_f64 v[148:149], v[215:216], s[22:23], v[144:145]
	v_add_f64 v[150:151], v[156:157], v[150:151]
	v_fma_f64 v[156:157], v[213:214], s[22:23], -v[12:13]
	v_add_f64 v[4:5], v[158:159], v[4:5]
	v_mul_f64 v[158:159], v[211:212], s[28:29]
	v_fma_f64 v[144:145], v[215:216], s[22:23], -v[144:145]
	v_add_f64 v[6:7], v[174:175], v[6:7]
	v_fma_f64 v[12:13], v[213:214], s[22:23], v[12:13]
	v_mul_f64 v[174:175], v[184:185], s[30:31]
	v_add_f64 v[0:1], v[0:1], v[138:139]
	v_add_f64 v[2:3], v[2:3], v[136:137]
	;; [unrolled: 1-line block ×3, first 2 shown]
	v_fma_f64 v[148:149], v[164:165], s[24:25], v[146:147]
	v_add_f64 v[150:151], v[156:157], v[150:151]
	v_fma_f64 v[146:147], v[164:165], s[24:25], -v[146:147]
	v_fma_f64 v[156:157], v[205:206], s[24:25], -v[158:159]
	v_add_f64 v[4:5], v[144:145], v[4:5]
	v_mul_f64 v[144:145], v[207:208], s[30:31]
	v_add_f64 v[6:7], v[12:13], v[6:7]
	v_fma_f64 v[158:159], v[205:206], s[24:25], v[158:159]
	v_mul_f64 v[12:13], v[180:181], s[38:39]
	v_add_f64 v[0:1], v[0:1], v[134:135]
	v_add_f64 v[2:3], v[2:3], v[132:133]
	v_mul_f64 v[134:135], v[194:195], s[44:45]
	v_add_f64 v[14:15], v[148:149], v[14:15]
	v_fma_f64 v[148:149], v[182:183], s[26:27], v[174:175]
	v_fma_f64 v[174:175], v[182:183], s[26:27], -v[174:175]
	v_add_f64 v[150:151], v[156:157], v[150:151]
	v_add_f64 v[4:5], v[146:147], v[4:5]
	v_fma_f64 v[156:157], v[170:171], s[26:27], -v[144:145]
	v_mul_f64 v[146:147], v[168:169], s[38:39]
	v_fma_f64 v[144:145], v[170:171], s[26:27], v[144:145]
	v_add_f64 v[6:7], v[158:159], v[6:7]
	v_mul_f64 v[158:159], v[178:179], s[48:49]
	v_add_f64 v[0:1], v[0:1], v[130:131]
	v_add_f64 v[2:3], v[2:3], v[128:129]
	v_add_f64 v[14:15], v[148:149], v[14:15]
	v_fma_f64 v[148:149], v[154:155], s[36:37], v[12:13]
	v_fma_f64 v[12:13], v[154:155], s[36:37], -v[12:13]
	v_add_f64 v[4:5], v[174:175], v[4:5]
	v_add_f64 v[150:151], v[156:157], v[150:151]
	v_fma_f64 v[156:157], v[152:153], s[36:37], -v[146:147]
	v_mul_f64 v[174:175], v[162:163], s[48:49]
	v_add_f64 v[6:7], v[144:145], v[6:7]
	v_fma_f64 v[144:145], v[152:153], s[36:37], v[146:147]
	v_fma_f64 v[146:147], v[176:177], s[34:35], v[158:159]
	v_fma_f64 v[158:159], v[176:177], s[34:35], -v[158:159]
	v_add_f64 v[0:1], v[0:1], v[126:127]
	v_add_f64 v[2:3], v[2:3], v[124:125]
	;; [unrolled: 1-line block ×4, first 2 shown]
	v_mul_f64 v[12:13], v[186:187], s[30:31]
	v_add_f64 v[148:149], v[156:157], v[150:151]
	v_fma_f64 v[150:151], v[160:161], s[34:35], -v[174:175]
	v_mul_f64 v[156:157], v[209:210], s[18:19]
	v_fma_f64 v[174:175], v[160:161], s[34:35], v[174:175]
	v_add_f64 v[6:7], v[144:145], v[6:7]
	v_add_f64 v[0:1], v[0:1], v[225:226]
	v_add_f64 v[2:3], v[2:3], v[223:224]
	v_mov_b32_e32 v224, v236
	v_add_f64 v[142:143], v[146:147], v[14:15]
	v_add_f64 v[146:147], v[158:159], v[4:5]
	v_fma_f64 v[4:5], v[199:200], s[26:27], v[230:231]
	v_mul_f64 v[158:159], v[192:193], s[40:41]
	v_add_f64 v[140:141], v[150:151], v[148:149]
	v_fma_f64 v[14:15], v[217:218], s[16:17], -v[156:157]
	v_fma_f64 v[148:149], v[197:198], s[26:27], -v[12:13]
	v_add_f64 v[144:145], v[174:175], v[6:7]
	v_add_f64 v[6:7], v[122:123], v[239:240]
	v_mul_f64 v[174:175], v[172:173], s[46:47]
	v_mul_f64 v[239:240], v[190:191], s[44:45]
	v_fma_f64 v[12:13], v[197:198], s[26:27], v[12:13]
	v_add_f64 v[14:15], v[120:121], v[14:15]
	v_add_f64 v[4:5], v[4:5], v[6:7]
	v_fma_f64 v[6:7], v[203:204], s[34:35], v[241:242]
	v_add_f64 v[14:15], v[148:149], v[14:15]
	v_add_f64 v[4:5], v[6:7], v[4:5]
	v_fma_f64 v[6:7], v[201:202], s[34:35], -v[158:159]
	v_add_f64 v[6:7], v[6:7], v[14:15]
	v_mul_f64 v[14:15], v[166:167], s[46:47]
	v_fma_f64 v[148:149], v[215:216], s[24:25], v[14:15]
	v_fma_f64 v[14:15], v[215:216], s[24:25], -v[14:15]
	v_add_f64 v[4:5], v[148:149], v[4:5]
	v_fma_f64 v[148:149], v[213:214], s[24:25], -v[174:175]
	v_add_f64 v[6:7], v[148:149], v[6:7]
	v_fma_f64 v[148:149], v[164:165], s[10:11], v[239:240]
	v_add_f64 v[4:5], v[148:149], v[4:5]
	v_fma_f64 v[148:149], v[205:206], s[10:11], -v[243:244]
	v_add_f64 v[6:7], v[148:149], v[6:7]
	v_fma_f64 v[148:149], v[182:183], s[2:3], v[245:246]
	;; [unrolled: 4-line block ×4, first 2 shown]
	v_add_f64 v[150:151], v[148:149], v[4:5]
	v_mul_f64 v[4:5], v[162:163], s[38:39]
	v_fma_f64 v[148:149], v[160:161], s[36:37], -v[4:5]
	v_fma_f64 v[4:5], v[160:161], s[36:37], v[4:5]
	v_add_f64 v[148:149], v[148:149], v[6:7]
	v_fma_f64 v[6:7], v[219:220], s[16:17], -v[228:229]
	v_fma_f64 v[228:229], v[199:200], s[26:27], -v[230:231]
	v_mul_f64 v[230:231], v[186:187], s[42:43]
	v_add_f64 v[6:7], v[122:123], v[6:7]
	v_fma_f64 v[132:133], v[197:198], s[36:37], -v[230:231]
	v_add_f64 v[6:7], v[228:229], v[6:7]
	v_fma_f64 v[228:229], v[203:204], s[34:35], -v[241:242]
	v_add_f64 v[6:7], v[228:229], v[6:7]
	v_add_f64 v[6:7], v[14:15], v[6:7]
	v_fma_f64 v[14:15], v[217:218], s[16:17], v[156:157]
	v_fma_f64 v[156:157], v[154:155], s[22:23], -v[249:250]
	v_add_f64 v[14:15], v[120:121], v[14:15]
	v_add_f64 v[12:13], v[12:13], v[14:15]
	v_fma_f64 v[14:15], v[164:165], s[10:11], -v[239:240]
	v_mul_f64 v[239:240], v[209:210], s[50:51]
	v_add_f64 v[6:7], v[14:15], v[6:7]
	v_fma_f64 v[14:15], v[201:202], s[34:35], v[158:159]
	v_fma_f64 v[158:159], v[152:153], s[22:23], v[251:252]
	v_add_f64 v[12:13], v[14:15], v[12:13]
	v_fma_f64 v[14:15], v[182:183], s[2:3], -v[245:246]
	v_add_f64 v[6:7], v[14:15], v[6:7]
	v_fma_f64 v[14:15], v[213:214], s[24:25], v[174:175]
	v_fma_f64 v[174:175], v[176:177], s[36:37], -v[253:254]
	v_add_f64 v[6:7], v[156:157], v[6:7]
	v_add_f64 v[12:13], v[14:15], v[12:13]
	v_fma_f64 v[14:15], v[205:206], s[10:11], v[243:244]
	v_mul_f64 v[156:157], v[209:210], s[28:29]
	v_add_f64 v[138:139], v[174:175], v[6:7]
	v_fma_f64 v[174:175], v[197:198], s[36:37], v[230:231]
	v_add_f64 v[12:13], v[14:15], v[12:13]
	v_fma_f64 v[14:15], v[170:171], s[2:3], v[247:248]
	v_fma_f64 v[247:248], v[217:218], s[22:23], v[239:240]
	v_fma_f64 v[239:240], v[217:218], s[22:23], -v[239:240]
	v_add_f64 v[12:13], v[14:15], v[12:13]
	v_mul_f64 v[14:15], v[221:222], s[28:29]
	v_add_f64 v[247:248], v[120:121], v[247:248]
	v_add_f64 v[239:240], v[120:121], v[239:240]
	;; [unrolled: 1-line block ×3, first 2 shown]
	v_mul_f64 v[158:159], v[188:189], s[42:43]
	v_fma_f64 v[228:229], v[219:220], s[24:25], v[14:15]
	v_add_f64 v[136:137], v[4:5], v[12:13]
	v_fma_f64 v[4:5], v[217:218], s[24:25], -v[156:157]
	v_fma_f64 v[6:7], v[199:200], s[36:37], v[158:159]
	v_fma_f64 v[12:13], v[219:220], s[24:25], -v[14:15]
	v_fma_f64 v[14:15], v[217:218], s[24:25], v[156:157]
	v_add_f64 v[156:157], v[122:123], v[228:229]
	v_fma_f64 v[158:159], v[199:200], s[36:37], -v[158:159]
	v_mul_f64 v[228:229], v[221:222], s[38:39]
	v_add_f64 v[4:5], v[120:121], v[4:5]
	v_add_f64 v[12:13], v[122:123], v[12:13]
	;; [unrolled: 1-line block ×4, first 2 shown]
	v_mul_f64 v[156:157], v[192:193], s[44:45]
	v_fma_f64 v[230:231], v[219:220], s[36:37], v[228:229]
	v_fma_f64 v[228:229], v[219:220], s[36:37], -v[228:229]
	v_add_f64 v[4:5], v[132:133], v[4:5]
	v_fma_f64 v[132:133], v[203:204], s[10:11], v[134:135]
	v_add_f64 v[12:13], v[158:159], v[12:13]
	v_mul_f64 v[158:159], v[166:167], s[18:19]
	v_add_f64 v[14:15], v[174:175], v[14:15]
	v_fma_f64 v[174:175], v[201:202], s[10:11], -v[156:157]
	v_fma_f64 v[134:135], v[203:204], s[10:11], -v[134:135]
	v_fma_f64 v[156:157], v[201:202], s[10:11], v[156:157]
	v_add_f64 v[228:229], v[122:123], v[228:229]
	v_add_f64 v[6:7], v[132:133], v[6:7]
	v_mul_f64 v[132:133], v[172:173], s[18:19]
	v_add_f64 v[4:5], v[174:175], v[4:5]
	v_fma_f64 v[174:175], v[215:216], s[16:17], v[158:159]
	v_add_f64 v[12:13], v[134:135], v[12:13]
	v_add_f64 v[14:15], v[156:157], v[14:15]
	v_mul_f64 v[156:157], v[190:191], s[48:49]
	v_fma_f64 v[158:159], v[215:216], s[16:17], -v[158:159]
	v_fma_f64 v[134:135], v[213:214], s[16:17], -v[132:133]
	v_fma_f64 v[132:133], v[213:214], s[16:17], v[132:133]
	v_add_f64 v[6:7], v[174:175], v[6:7]
	v_mul_f64 v[174:175], v[211:212], s[48:49]
	v_add_f64 v[12:13], v[158:159], v[12:13]
	v_mul_f64 v[158:159], v[184:185], s[50:51]
	v_add_f64 v[4:5], v[134:135], v[4:5]
	v_fma_f64 v[134:135], v[164:165], s[34:35], v[156:157]
	v_add_f64 v[14:15], v[132:133], v[14:15]
	v_fma_f64 v[156:157], v[164:165], s[34:35], -v[156:157]
	v_fma_f64 v[132:133], v[205:206], s[34:35], -v[174:175]
	v_fma_f64 v[174:175], v[205:206], s[34:35], v[174:175]
	v_add_f64 v[6:7], v[134:135], v[6:7]
	v_mul_f64 v[134:135], v[207:208], s[50:51]
	v_add_f64 v[12:13], v[156:157], v[12:13]
	v_add_f64 v[4:5], v[132:133], v[4:5]
	v_fma_f64 v[132:133], v[182:183], s[22:23], v[158:159]
	v_add_f64 v[14:15], v[174:175], v[14:15]
	v_mul_f64 v[174:175], v[180:181], s[0:1]
	v_fma_f64 v[158:159], v[182:183], s[22:23], -v[158:159]
	v_fma_f64 v[156:157], v[170:171], s[22:23], -v[134:135]
	v_fma_f64 v[134:135], v[170:171], s[22:23], v[134:135]
	v_add_f64 v[6:7], v[132:133], v[6:7]
	v_mul_f64 v[132:133], v[168:169], s[0:1]
	v_add_f64 v[12:13], v[158:159], v[12:13]
	v_mul_f64 v[158:159], v[178:179], s[30:31]
	v_add_f64 v[4:5], v[156:157], v[4:5]
	v_fma_f64 v[156:157], v[154:155], s[2:3], v[174:175]
	v_add_f64 v[14:15], v[134:135], v[14:15]
	v_fma_f64 v[174:175], v[154:155], s[2:3], -v[174:175]
	v_fma_f64 v[134:135], v[152:153], s[2:3], -v[132:133]
	v_fma_f64 v[132:133], v[152:153], s[2:3], v[132:133]
	v_add_f64 v[6:7], v[156:157], v[6:7]
	v_mul_f64 v[156:157], v[162:163], s[30:31]
	v_add_f64 v[12:13], v[174:175], v[12:13]
	v_add_f64 v[4:5], v[134:135], v[4:5]
	v_fma_f64 v[134:135], v[176:177], s[26:27], v[158:159]
	v_add_f64 v[14:15], v[132:133], v[14:15]
	v_fma_f64 v[158:159], v[176:177], s[26:27], -v[158:159]
	v_fma_f64 v[174:175], v[160:161], s[26:27], -v[156:157]
	v_fma_f64 v[156:157], v[160:161], s[26:27], v[156:157]
	v_add_f64 v[134:135], v[134:135], v[6:7]
	v_mul_f64 v[6:7], v[221:222], s[52:53]
	v_add_f64 v[130:131], v[158:159], v[12:13]
	v_add_f64 v[132:133], v[174:175], v[4:5]
	v_mul_f64 v[4:5], v[221:222], s[40:41]
	v_mul_f64 v[174:175], v[221:222], s[50:51]
	;; [unrolled: 1-line block ×3, first 2 shown]
	v_add_f64 v[128:129], v[156:157], v[14:15]
	v_fma_f64 v[14:15], v[219:220], s[26:27], v[6:7]
	v_fma_f64 v[6:7], v[219:220], s[26:27], -v[6:7]
	v_fma_f64 v[12:13], v[219:220], s[34:35], v[4:5]
	v_fma_f64 v[4:5], v[219:220], s[34:35], -v[4:5]
	v_fma_f64 v[124:125], v[219:220], s[22:23], -v[174:175]
	;; [unrolled: 1-line block ×3, first 2 shown]
	v_fma_f64 v[156:157], v[219:220], s[22:23], v[174:175]
	v_fma_f64 v[158:159], v[219:220], s[10:11], v[221:222]
	v_mul_f64 v[174:175], v[209:210], s[38:39]
	v_mul_f64 v[219:220], v[209:210], s[40:41]
	;; [unrolled: 1-line block ×4, first 2 shown]
	v_add_f64 v[14:15], v[122:123], v[14:15]
	v_add_f64 v[12:13], v[122:123], v[12:13]
	;; [unrolled: 1-line block ×6, first 2 shown]
	v_fma_f64 v[241:242], v[217:218], s[36:37], -v[174:175]
	v_fma_f64 v[243:244], v[217:218], s[34:35], -v[219:220]
	;; [unrolled: 1-line block ×3, first 2 shown]
	v_fma_f64 v[174:175], v[217:218], s[36:37], v[174:175]
	v_fma_f64 v[219:220], v[217:218], s[34:35], v[219:220]
	;; [unrolled: 1-line block ×4, first 2 shown]
	v_fma_f64 v[209:210], v[217:218], s[10:11], -v[209:210]
	v_add_f64 v[217:218], v[122:123], v[230:231]
	v_add_f64 v[230:231], v[120:121], v[241:242]
	;; [unrolled: 1-line block ×5, first 2 shown]
	v_mul_f64 v[6:7], v[188:189], s[54:55]
	v_add_f64 v[174:175], v[120:121], v[174:175]
	v_add_f64 v[219:220], v[120:121], v[219:220]
	;; [unrolled: 1-line block ×6, first 2 shown]
	v_mul_f64 v[209:210], v[194:195], s[20:21]
	v_fma_f64 v[120:121], v[199:200], s[16:17], v[6:7]
	v_fma_f64 v[6:7], v[199:200], s[16:17], -v[6:7]
	v_add_f64 v[120:121], v[120:121], v[217:218]
	v_fma_f64 v[217:218], v[203:204], s[22:23], v[209:210]
	v_add_f64 v[6:7], v[6:7], v[228:229]
	v_fma_f64 v[209:210], v[203:204], s[22:23], -v[209:210]
	v_add_f64 v[120:121], v[217:218], v[120:121]
	v_mul_f64 v[217:218], v[186:187], s[54:55]
	v_add_f64 v[6:7], v[209:210], v[6:7]
	v_mul_f64 v[209:210], v[166:167], s[52:53]
	v_fma_f64 v[228:229], v[197:198], s[16:17], -v[217:218]
	v_add_f64 v[228:229], v[228:229], v[230:231]
	v_fma_f64 v[230:231], v[215:216], s[26:27], v[209:210]
	v_fma_f64 v[209:210], v[215:216], s[26:27], -v[209:210]
	v_add_f64 v[120:121], v[230:231], v[120:121]
	v_mul_f64 v[230:231], v[192:193], s[20:21]
	v_add_f64 v[6:7], v[209:210], v[6:7]
	v_mul_f64 v[209:210], v[190:191], s[0:1]
	v_fma_f64 v[251:252], v[201:202], s[22:23], -v[230:231]
	v_add_f64 v[228:229], v[251:252], v[228:229]
	v_fma_f64 v[251:252], v[164:165], s[2:3], v[209:210]
	;; [unrolled: 8-line block ×3, first 2 shown]
	v_fma_f64 v[209:210], v[182:183], s[34:35], -v[209:210]
	v_add_f64 v[120:121], v[253:254], v[120:121]
	v_add_f64 v[6:7], v[209:210], v[6:7]
	v_fma_f64 v[209:210], v[197:198], s[16:17], v[217:218]
	v_mul_f64 v[253:254], v[211:212], s[0:1]
	v_add_f64 v[174:175], v[209:210], v[174:175]
	v_mul_f64 v[209:210], v[180:181], s[44:45]
	v_fma_f64 v[236:237], v[205:206], s[2:3], -v[253:254]
	v_fma_f64 v[217:218], v[154:155], s[10:11], v[209:210]
	v_add_f64 v[228:229], v[236:237], v[228:229]
	v_fma_f64 v[209:210], v[154:155], s[10:11], -v[209:210]
	v_add_f64 v[217:218], v[217:218], v[120:121]
	v_mul_f64 v[120:121], v[207:208], s[48:49]
	s_mov_b32 s49, 0x3fc7851a
	s_mov_b32 s48, s0
	v_fma_f64 v[236:237], v[170:171], s[34:35], -v[120:121]
	v_fma_f64 v[120:121], v[170:171], s[34:35], v[120:121]
	v_add_f64 v[228:229], v[236:237], v[228:229]
	v_add_f64 v[236:237], v[209:210], v[6:7]
	v_fma_f64 v[6:7], v[201:202], s[22:23], v[230:231]
	v_mul_f64 v[209:210], v[188:189], s[0:1]
	v_mul_f64 v[230:231], v[168:169], s[44:45]
	v_add_f64 v[174:175], v[6:7], v[174:175]
	v_fma_f64 v[6:7], v[199:200], s[2:3], v[209:210]
	v_fma_f64 v[209:210], v[199:200], s[2:3], -v[209:210]
	v_add_f64 v[12:13], v[6:7], v[12:13]
	v_fma_f64 v[6:7], v[152:153], s[10:11], -v[230:231]
	v_add_f64 v[4:5], v[209:210], v[4:5]
	v_mul_f64 v[209:210], v[194:195], s[42:43]
	v_add_f64 v[6:7], v[6:7], v[228:229]
	v_mul_f64 v[228:229], v[186:187], s[0:1]
	buffer_store_dword v6, off, s[60:63], 0 offset:80 ; 4-byte Folded Spill
	buffer_store_dword v7, off, s[60:63], 0 offset:84 ; 4-byte Folded Spill
	v_fma_f64 v[225:226], v[197:198], s[2:3], -v[228:229]
	v_fma_f64 v[228:229], v[197:198], s[2:3], v[228:229]
	v_add_f64 v[225:226], v[225:226], v[241:242]
	v_fma_f64 v[241:242], v[213:214], s[26:27], v[251:252]
	v_add_f64 v[219:220], v[228:229], v[219:220]
	v_mul_f64 v[228:229], v[188:189], s[28:29]
	v_add_f64 v[174:175], v[241:242], v[174:175]
	v_fma_f64 v[241:242], v[203:204], s[36:37], v[209:210]
	v_fma_f64 v[209:210], v[203:204], s[36:37], -v[209:210]
	v_add_f64 v[12:13], v[241:242], v[12:13]
	v_mul_f64 v[241:242], v[192:193], s[42:43]
	v_add_f64 v[4:5], v[209:210], v[4:5]
	v_mul_f64 v[209:210], v[166:167], s[8:9]
	v_fma_f64 v[251:252], v[201:202], s[36:37], -v[241:242]
	v_fma_f64 v[241:242], v[201:202], s[36:37], v[241:242]
	v_add_f64 v[225:226], v[251:252], v[225:226]
	v_fma_f64 v[251:252], v[205:206], s[2:3], v[253:254]
	v_add_f64 v[219:220], v[241:242], v[219:220]
	v_mul_f64 v[241:242], v[194:195], s[48:49]
	v_add_f64 v[174:175], v[251:252], v[174:175]
	v_fma_f64 v[251:252], v[215:216], s[10:11], v[209:210]
	v_fma_f64 v[209:210], v[215:216], s[10:11], -v[209:210]
	v_add_f64 v[120:121], v[120:121], v[174:175]
	v_add_f64 v[12:13], v[251:252], v[12:13]
	v_fma_f64 v[251:252], v[199:200], s[24:25], v[228:229]
	v_mul_f64 v[174:175], v[186:187], s[28:29]
	v_fma_f64 v[228:229], v[199:200], s[24:25], -v[228:229]
	v_add_f64 v[4:5], v[209:210], v[4:5]
	v_mul_f64 v[209:210], v[190:191], s[52:53]
	v_add_f64 v[14:15], v[251:252], v[14:15]
	v_mul_f64 v[251:252], v[172:173], s[8:9]
	v_add_f64 v[228:229], v[228:229], v[245:246]
	v_fma_f64 v[245:246], v[203:204], s[2:3], v[241:242]
	v_fma_f64 v[241:242], v[203:204], s[2:3], -v[241:242]
	v_fma_f64 v[253:254], v[213:214], s[10:11], -v[251:252]
	v_add_f64 v[14:15], v[245:246], v[14:15]
	v_mul_f64 v[245:246], v[211:212], s[52:53]
	v_add_f64 v[228:229], v[241:242], v[228:229]
	v_fma_f64 v[241:242], v[213:214], s[10:11], v[251:252]
	v_add_f64 v[225:226], v[253:254], v[225:226]
	v_fma_f64 v[253:254], v[197:198], s[24:25], -v[174:175]
	v_fma_f64 v[174:175], v[197:198], s[24:25], v[174:175]
	v_add_f64 v[219:220], v[241:242], v[219:220]
	v_mul_f64 v[241:242], v[166:167], s[42:43]
	v_add_f64 v[243:244], v[253:254], v[243:244]
	v_fma_f64 v[253:254], v[164:165], s[26:27], v[209:210]
	v_fma_f64 v[209:210], v[164:165], s[26:27], -v[209:210]
	v_add_f64 v[221:222], v[174:175], v[221:222]
	v_add_f64 v[12:13], v[253:254], v[12:13]
	v_fma_f64 v[253:254], v[205:206], s[26:27], -v[245:246]
	v_add_f64 v[4:5], v[209:210], v[4:5]
	v_mul_f64 v[209:210], v[184:185], s[18:19]
	v_add_f64 v[225:226], v[253:254], v[225:226]
	v_mul_f64 v[253:254], v[192:193], s[48:49]
	v_fma_f64 v[6:7], v[201:202], s[2:3], -v[253:254]
	v_add_f64 v[6:7], v[6:7], v[243:244]
	v_fma_f64 v[243:244], v[182:183], s[16:17], v[209:210]
	v_add_f64 v[12:13], v[243:244], v[12:13]
	v_fma_f64 v[243:244], v[215:216], s[36:37], v[241:242]
	v_add_f64 v[14:15], v[243:244], v[14:15]
	v_mul_f64 v[243:244], v[207:208], s[18:19]
	v_fma_f64 v[251:252], v[170:171], s[16:17], -v[243:244]
	v_add_f64 v[225:226], v[251:252], v[225:226]
	v_mul_f64 v[251:252], v[172:173], s[42:43]
	v_fma_f64 v[174:175], v[213:214], s[36:37], -v[251:252]
	v_add_f64 v[6:7], v[174:175], v[6:7]
	v_fma_f64 v[174:175], v[182:183], s[16:17], -v[209:210]
	v_fma_f64 v[209:210], v[205:206], s[26:27], v[245:246]
	v_add_f64 v[4:5], v[174:175], v[4:5]
	v_fma_f64 v[174:175], v[152:153], s[10:11], v[230:231]
	v_mul_f64 v[230:231], v[180:181], s[46:47]
	v_add_f64 v[219:220], v[209:210], v[219:220]
	v_add_f64 v[120:121], v[174:175], v[120:121]
	v_fma_f64 v[174:175], v[154:155], s[24:25], v[230:231]
	v_fma_f64 v[230:231], v[154:155], s[24:25], -v[230:231]
	v_add_f64 v[174:175], v[174:175], v[12:13]
	v_fma_f64 v[12:13], v[215:216], s[36:37], -v[241:242]
	v_add_f64 v[230:231], v[230:231], v[4:5]
	v_mul_f64 v[241:242], v[168:169], s[46:47]
	v_add_f64 v[12:13], v[12:13], v[228:229]
	v_mul_f64 v[228:229], v[190:191], s[20:21]
	v_fma_f64 v[4:5], v[164:165], s[22:23], -v[228:229]
	v_fma_f64 v[209:210], v[164:165], s[22:23], v[228:229]
	v_add_f64 v[4:5], v[4:5], v[12:13]
	v_fma_f64 v[12:13], v[170:171], s[16:17], v[243:244]
	v_add_f64 v[14:15], v[209:210], v[14:15]
	v_fma_f64 v[209:210], v[152:153], s[24:25], -v[241:242]
	v_add_f64 v[12:13], v[12:13], v[219:220]
	v_mul_f64 v[219:220], v[184:185], s[44:45]
	v_add_f64 v[209:210], v[209:210], v[225:226]
	v_fma_f64 v[225:226], v[201:202], s[2:3], v[253:254]
	v_fma_f64 v[228:229], v[182:183], s[10:11], v[219:220]
	v_fma_f64 v[219:220], v[182:183], s[10:11], -v[219:220]
	v_add_f64 v[221:222], v[225:226], v[221:222]
	v_mul_f64 v[225:226], v[211:212], s[20:21]
	v_add_f64 v[14:15], v[228:229], v[14:15]
	v_fma_f64 v[228:229], v[213:214], s[36:37], v[251:252]
	v_add_f64 v[4:5], v[219:220], v[4:5]
	v_fma_f64 v[219:220], v[205:206], s[22:23], v[225:226]
	v_fma_f64 v[245:246], v[205:206], s[22:23], -v[225:226]
	v_add_f64 v[221:222], v[228:229], v[221:222]
	v_mul_f64 v[228:229], v[207:208], s[44:45]
	v_add_f64 v[6:7], v[245:246], v[6:7]
	v_add_f64 v[219:220], v[219:220], v[221:222]
	v_mul_f64 v[221:222], v[188:189], s[40:41]
	v_mul_f64 v[188:189], v[188:189], s[50:51]
	v_fma_f64 v[243:244], v[170:171], s[10:11], -v[228:229]
	v_fma_f64 v[225:226], v[199:200], s[34:35], -v[221:222]
	v_fma_f64 v[221:222], v[199:200], s[34:35], v[221:222]
	v_add_f64 v[6:7], v[243:244], v[6:7]
	v_add_f64 v[124:125], v[225:226], v[124:125]
	v_fma_f64 v[225:226], v[199:200], s[22:23], -v[188:189]
	v_fma_f64 v[188:189], v[199:200], s[22:23], v[188:189]
	v_mul_f64 v[199:200], v[186:187], s[40:41]
	v_add_f64 v[156:157], v[221:222], v[156:157]
	v_mul_f64 v[221:222], v[194:195], s[28:29]
	v_mul_f64 v[194:195], v[194:195], s[52:53]
	;; [unrolled: 1-line block ×3, first 2 shown]
	v_add_f64 v[126:127], v[225:226], v[126:127]
	v_add_f64 v[122:123], v[188:189], v[122:123]
	v_fma_f64 v[243:244], v[197:198], s[34:35], v[199:200]
	v_fma_f64 v[199:200], v[197:198], s[34:35], -v[199:200]
	v_mul_f64 v[188:189], v[192:193], s[28:29]
	v_mul_f64 v[192:193], v[192:193], s[52:53]
	v_fma_f64 v[245:246], v[197:198], s[22:23], v[186:187]
	v_fma_f64 v[186:187], v[197:198], s[22:23], -v[186:187]
	v_add_f64 v[225:226], v[243:244], v[247:248]
	v_add_f64 v[199:200], v[199:200], v[239:240]
	v_fma_f64 v[239:240], v[203:204], s[24:25], -v[221:222]
	v_fma_f64 v[221:222], v[203:204], s[24:25], v[221:222]
	v_add_f64 v[197:198], v[245:246], v[249:250]
	v_fma_f64 v[243:244], v[201:202], s[26:27], v[192:193]
	v_fma_f64 v[192:193], v[201:202], s[26:27], -v[192:193]
	v_add_f64 v[158:159], v[186:187], v[158:159]
	v_add_f64 v[124:125], v[239:240], v[124:125]
	v_fma_f64 v[239:240], v[203:204], s[26:27], -v[194:195]
	v_fma_f64 v[194:195], v[203:204], s[26:27], v[194:195]
	v_fma_f64 v[203:204], v[201:202], s[24:25], v[188:189]
	v_fma_f64 v[188:189], v[201:202], s[24:25], -v[188:189]
	v_add_f64 v[186:187], v[243:244], v[197:198]
	v_add_f64 v[158:159], v[192:193], v[158:159]
	v_mul_f64 v[192:193], v[190:191], s[54:55]
	v_add_f64 v[156:157], v[221:222], v[156:157]
	v_mul_f64 v[190:191], v[190:191], s[38:39]
	v_add_f64 v[126:127], v[239:240], v[126:127]
	v_add_f64 v[122:123], v[194:195], v[122:123]
	v_mul_f64 v[194:195], v[172:173], s[0:1]
	v_add_f64 v[188:189], v[188:189], v[199:200]
	v_mul_f64 v[199:200], v[166:167], s[0:1]
	v_mul_f64 v[166:167], v[166:167], s[40:41]
	v_add_f64 v[197:198], v[203:204], v[225:226]
	v_mul_f64 v[172:173], v[172:173], s[40:41]
	v_fma_f64 v[203:204], v[213:214], s[2:3], v[194:195]
	v_fma_f64 v[194:195], v[213:214], s[2:3], -v[194:195]
	v_fma_f64 v[201:202], v[215:216], s[2:3], -v[199:200]
	v_fma_f64 v[199:200], v[215:216], s[2:3], v[199:200]
	v_add_f64 v[197:198], v[203:204], v[197:198]
	v_mul_f64 v[203:204], v[211:212], s[38:39]
	v_add_f64 v[124:125], v[201:202], v[124:125]
	v_fma_f64 v[201:202], v[215:216], s[34:35], -v[166:167]
	v_fma_f64 v[166:167], v[215:216], s[34:35], v[166:167]
	v_fma_f64 v[215:216], v[213:214], s[34:35], v[172:173]
	v_mul_f64 v[211:212], v[211:212], s[54:55]
	v_add_f64 v[156:157], v[199:200], v[156:157]
	v_mul_f64 v[199:200], v[184:185], s[42:43]
	v_add_f64 v[188:189], v[194:195], v[188:189]
	v_fma_f64 v[194:195], v[164:165], s[36:37], -v[190:191]
	v_fma_f64 v[172:173], v[213:214], s[34:35], -v[172:173]
	v_mul_f64 v[184:185], v[184:185], s[28:29]
	v_fma_f64 v[213:214], v[170:171], s[10:11], v[228:229]
	v_mul_f64 v[228:229], v[178:179], s[0:1]
	v_add_f64 v[126:127], v[201:202], v[126:127]
	v_fma_f64 v[201:202], v[164:165], s[16:17], -v[192:193]
	v_add_f64 v[186:187], v[215:216], v[186:187]
	v_fma_f64 v[192:193], v[164:165], s[16:17], v[192:193]
	v_fma_f64 v[164:165], v[164:165], s[36:37], v[190:191]
	;; [unrolled: 1-line block ×3, first 2 shown]
	v_add_f64 v[122:123], v[166:167], v[122:123]
	v_mul_f64 v[166:167], v[207:208], s[42:43]
	v_mul_f64 v[207:208], v[207:208], s[28:29]
	v_fma_f64 v[211:212], v[205:206], s[16:17], -v[211:212]
	v_add_f64 v[158:159], v[172:173], v[158:159]
	v_mul_f64 v[172:173], v[180:181], s[40:41]
	v_fma_f64 v[215:216], v[152:153], s[24:25], v[241:242]
	v_mul_f64 v[241:242], v[162:163], s[0:1]
	v_add_f64 v[213:214], v[213:214], v[219:220]
	v_mul_f64 v[219:220], v[162:163], s[18:19]
	v_add_f64 v[126:127], v[194:195], v[126:127]
	v_add_f64 v[124:125], v[201:202], v[124:125]
	v_fma_f64 v[201:202], v[205:206], s[36:37], v[203:204]
	v_fma_f64 v[203:204], v[205:206], s[36:37], -v[203:204]
	v_fma_f64 v[205:206], v[182:183], s[36:37], -v[199:200]
	v_mul_f64 v[194:195], v[180:181], s[30:31]
	v_add_f64 v[190:191], v[190:191], v[197:198]
	v_fma_f64 v[197:198], v[182:183], s[24:25], -v[184:185]
	v_add_f64 v[156:157], v[192:193], v[156:157]
	v_fma_f64 v[192:193], v[170:171], s[24:25], v[207:208]
	v_add_f64 v[188:189], v[211:212], v[188:189]
	v_fma_f64 v[211:212], v[170:171], s[36:37], v[166:167]
	v_mul_f64 v[180:181], v[180:181], s[18:19]
	v_add_f64 v[122:123], v[164:165], v[122:123]
	v_mul_f64 v[164:165], v[168:169], s[18:19]
	v_fma_f64 v[166:167], v[170:171], s[36:37], -v[166:167]
	v_fma_f64 v[199:200], v[182:183], s[36:37], v[199:200]
	v_fma_f64 v[182:183], v[182:183], s[24:25], v[184:185]
	v_mul_f64 v[184:185], v[168:169], s[40:41]
	v_fma_f64 v[170:171], v[170:171], s[24:25], -v[207:208]
	v_mul_f64 v[168:169], v[168:169], s[30:31]
	v_fma_f64 v[245:246], v[160:161], s[16:17], v[219:220]
	v_add_f64 v[186:187], v[201:202], v[186:187]
	v_mul_f64 v[201:202], v[178:179], s[28:29]
	v_add_f64 v[124:125], v[205:206], v[124:125]
	v_fma_f64 v[207:208], v[154:155], s[26:27], -v[194:195]
	v_fma_f64 v[205:206], v[154:155], s[34:35], -v[172:173]
	v_add_f64 v[158:159], v[203:204], v[158:159]
	v_add_f64 v[126:127], v[197:198], v[126:127]
	v_fma_f64 v[172:173], v[154:155], s[34:35], v[172:173]
	v_mul_f64 v[197:198], v[162:163], s[28:29]
	v_add_f64 v[190:191], v[211:212], v[190:191]
	v_fma_f64 v[225:226], v[154:155], s[16:17], -v[180:181]
	v_fma_f64 v[194:195], v[154:155], s[26:27], v[194:195]
	v_mul_f64 v[211:212], v[178:179], s[18:19]
	v_add_f64 v[166:167], v[166:167], v[188:189]
	v_fma_f64 v[188:189], v[152:153], s[16:17], v[164:165]
	v_add_f64 v[156:157], v[199:200], v[156:157]
	v_fma_f64 v[221:222], v[152:153], s[34:35], -v[184:185]
	v_fma_f64 v[184:185], v[152:153], s[34:35], v[184:185]
	v_fma_f64 v[154:155], v[154:155], s[16:17], v[180:181]
	v_mul_f64 v[180:181], v[178:179], s[8:9]
	v_add_f64 v[239:240], v[182:183], v[122:123]
	v_add_f64 v[186:187], v[192:193], v[186:187]
	v_fma_f64 v[203:204], v[176:177], s[24:25], v[201:202]
	v_fma_f64 v[201:202], v[176:177], s[24:25], -v[201:202]
	v_mul_f64 v[192:193], v[178:179], s[20:21]
	v_add_f64 v[207:208], v[207:208], v[124:125]
	v_fma_f64 v[124:125], v[152:153], s[26:27], v[168:169]
	v_fma_f64 v[168:169], v[152:153], s[26:27], -v[168:169]
	v_fma_f64 v[152:153], v[152:153], s[16:17], -v[164:165]
	v_mul_f64 v[164:165], v[162:163], s[8:9]
	v_mul_f64 v[162:163], v[162:163], s[20:21]
	v_add_f64 v[205:206], v[205:206], v[4:5]
	v_fma_f64 v[199:200], v[160:161], s[24:25], -v[197:198]
	v_add_f64 v[158:159], v[170:171], v[158:159]
	v_add_f64 v[178:179], v[194:195], v[156:157]
	;; [unrolled: 1-line block ×3, first 2 shown]
	v_fma_f64 v[247:248], v[176:177], s[10:11], -v[180:181]
	v_fma_f64 v[180:181], v[176:177], s[10:11], v[180:181]
	v_add_f64 v[170:171], v[154:155], v[239:240]
	v_add_f64 v[4:5], v[203:204], v[217:218]
	;; [unrolled: 1-line block ×5, first 2 shown]
	v_fma_f64 v[14:15], v[160:161], s[2:3], v[241:242]
	v_add_f64 v[122:123], v[201:202], v[236:237]
	v_add_f64 v[243:244], v[124:125], v[190:191]
	;; [unrolled: 1-line block ×3, first 2 shown]
	v_fma_f64 v[12:13], v[176:177], s[2:3], -v[228:229]
	v_fma_f64 v[201:202], v[160:161], s[24:25], v[197:198]
	v_fma_f64 v[194:195], v[176:177], s[22:23], v[192:193]
	v_fma_f64 v[197:198], v[160:161], s[22:23], -v[162:163]
	v_fma_f64 v[126:127], v[176:177], s[22:23], -v[192:193]
	v_add_f64 v[188:189], v[221:222], v[6:7]
	v_fma_f64 v[6:7], v[160:161], s[10:11], v[164:165]
	v_fma_f64 v[203:204], v[160:161], s[22:23], v[162:163]
	v_fma_f64 v[192:193], v[160:161], s[16:17], -v[219:220]
	v_fma_f64 v[182:183], v[160:161], s[10:11], -v[164:165]
	v_add_f64 v[184:185], v[168:169], v[166:167]
	v_fma_f64 v[172:173], v[160:161], s[2:3], -v[241:242]
	v_add_f64 v[166:167], v[0:1], v[18:19]
	v_fma_f64 v[236:237], v[176:177], s[16:17], -v[211:212]
	v_fma_f64 v[190:191], v[176:177], s[16:17], v[211:212]
	v_fma_f64 v[168:169], v[176:177], s[2:3], v[228:229]
	v_add_f64 v[176:177], v[152:153], v[158:159]
	v_add_f64 v[164:165], v[2:3], v[16:17]
	;; [unrolled: 1-line block ×3, first 2 shown]
	s_clause 0x3
	buffer_load_dword v226, off, s[60:63], 0 offset:64
	buffer_load_dword v225, off, s[60:63], 0 offset:48
	;; [unrolled: 1-line block ×4, first 2 shown]
	v_add_f64 v[158:159], v[247:248], v[207:208]
	v_add_f64 v[162:163], v[12:13], v[217:218]
	;; [unrolled: 1-line block ×4, first 2 shown]
	s_clause 0x1
	buffer_load_dword v195, off, s[60:63], 0 offset:72
	buffer_load_dword v194, off, s[60:63], 0 offset:68
	v_add_f64 v[12:13], v[197:198], v[209:210]
	buffer_load_dword v198, off, s[60:63], 0 offset:76 ; 4-byte Folded Reload
	v_add_f64 v[156:157], v[6:7], v[243:244]
	v_add_f64 v[126:127], v[126:127], v[230:231]
	;; [unrolled: 1-line block ×11, first 2 shown]
	s_waitcnt vmcnt(3)
	v_add_f64 v[2:3], v[199:200], v[0:1]
	v_mul_lo_u16 v0, v224, 17
	v_and_b32_e32 v0, 0xffff, v0
	v_lshl_add_u32 v0, v0, 4, v238
	ds_write_b128 v0, v[164:167]
	ds_write_b128 v0, v[160:163] offset:16
	ds_write_b128 v0, v[156:159] offset:32
	;; [unrolled: 1-line block ×16, first 2 shown]
.LBB0_13:
	s_or_b32 exec_lo, exec_lo, s33
	s_waitcnt vmcnt(0) lgkmcnt(0)
	s_waitcnt_vscnt null, 0x0
	s_barrier
	buffer_gl0_inv
	ds_read_b128 v[0:3], v227 offset:4080
	ds_read_b128 v[4:7], v227 offset:8160
	;; [unrolled: 1-line block ×7, first 2 shown]
	ds_read_b128 v[136:139], v227
	ds_read_b128 v[140:143], v227 offset:816
	ds_read_b128 v[144:147], v227 offset:10608
	ds_read_b128 v[148:151], v227 offset:3264
	ds_read_b128 v[152:155], v227 offset:7344
	ds_read_b128 v[156:159], v227 offset:11424
	ds_read_b128 v[160:163], v227 offset:1632
	ds_read_b128 v[164:167], v227 offset:2448
	s_clause 0x7
	buffer_load_dword v16, off, s[60:63], 0
	buffer_load_dword v17, off, s[60:63], 0 offset:4
	buffer_load_dword v18, off, s[60:63], 0 offset:8
	;; [unrolled: 1-line block ×7, first 2 shown]
	s_mov_b32 s0, 0xe8584caa
	s_mov_b32 s1, 0xbfebb67a
	;; [unrolled: 1-line block ×4, first 2 shown]
	s_waitcnt lgkmcnt(14)
	v_mul_f64 v[168:169], v[46:47], v[2:3]
	s_waitcnt lgkmcnt(13)
	v_mul_f64 v[170:171], v[50:51], v[6:7]
	v_mul_f64 v[46:47], v[46:47], v[0:1]
	;; [unrolled: 1-line block ×3, first 2 shown]
	s_waitcnt lgkmcnt(12)
	v_mul_f64 v[172:173], v[38:39], v[14:15]
	s_waitcnt lgkmcnt(11)
	v_mul_f64 v[174:175], v[42:43], v[122:123]
	v_mul_f64 v[38:39], v[38:39], v[12:13]
	;; [unrolled: 1-line block ×3, first 2 shown]
	s_waitcnt lgkmcnt(8)
	v_mul_f64 v[182:183], v[34:35], v[134:135]
	v_mul_f64 v[34:35], v[34:35], v[132:133]
	s_waitcnt lgkmcnt(5)
	v_mul_f64 v[184:185], v[30:31], v[146:147]
	v_mul_f64 v[30:31], v[30:31], v[144:145]
	;; [unrolled: 3-line block ×3, first 2 shown]
	v_mul_f64 v[186:187], v[26:27], v[154:155]
	v_mul_f64 v[26:27], v[26:27], v[152:153]
	s_waitcnt vmcnt(0) lgkmcnt(0)
	s_barrier
	buffer_gl0_inv
	s_mov_b32 s16, 0x134454ff
	s_mov_b32 s17, 0xbfee6f0e
	;; [unrolled: 1-line block ×3, first 2 shown]
	v_fma_f64 v[0:1], v[44:45], v[0:1], v[168:169]
	v_fma_f64 v[4:5], v[48:49], v[4:5], v[170:171]
	v_fma_f64 v[2:3], v[44:45], v[2:3], -v[46:47]
	v_fma_f64 v[6:7], v[48:49], v[6:7], -v[50:51]
	v_fma_f64 v[12:13], v[36:37], v[12:13], v[172:173]
	v_fma_f64 v[44:45], v[40:41], v[120:121], v[174:175]
	v_fma_f64 v[14:15], v[36:37], v[14:15], -v[38:39]
	v_fma_f64 v[36:37], v[40:41], v[122:123], -v[42:43]
	s_mov_b32 s20, s16
	s_mov_b32 s10, 0x4755a5e
	v_fma_f64 v[48:49], v[28:29], v[144:145], v[184:185]
	v_fma_f64 v[50:51], v[28:29], v[146:147], -v[30:31]
	v_fma_f64 v[120:121], v[20:21], v[156:157], v[188:189]
	v_fma_f64 v[122:123], v[20:21], v[158:159], -v[22:23]
	;; [unrolled: 2-line block ×3, first 2 shown]
	s_mov_b32 s11, 0xbfe2cf23
	s_mov_b32 s19, 0x3fe2cf23
	;; [unrolled: 1-line block ×5, first 2 shown]
	v_add_f64 v[26:27], v[136:137], v[0:1]
	v_add_f64 v[20:21], v[0:1], v[4:5]
	;; [unrolled: 1-line block ×8, first 2 shown]
	v_add_f64 v[170:171], v[28:29], -v[120:121]
	v_fma_f64 v[20:21], v[20:21], -0.5, v[136:137]
	v_fma_f64 v[22:23], v[22:23], -0.5, v[138:139]
	v_fma_f64 v[30:31], v[30:31], -0.5, v[140:141]
	v_add_f64 v[120:121], v[156:157], v[120:121]
	v_mul_f64 v[176:177], v[18:19], v[126:127]
	v_mul_f64 v[178:179], v[192:193], v[130:131]
	;; [unrolled: 1-line block ×4, first 2 shown]
	v_fma_f64 v[38:39], v[16:17], v[124:125], v[176:177]
	v_fma_f64 v[40:41], v[190:191], v[128:129], v[178:179]
	v_fma_f64 v[42:43], v[16:17], v[126:127], -v[180:181]
	v_fma_f64 v[46:47], v[190:191], v[130:131], -v[18:19]
	;; [unrolled: 1-line block ×3, first 2 shown]
	v_add_f64 v[34:35], v[14:15], v[36:37]
	v_fma_f64 v[16:17], v[32:33], v[132:133], v[182:183]
	v_add_f64 v[124:125], v[0:1], -v[4:5]
	v_add_f64 v[128:129], v[14:15], -v[36:37]
	v_add_f64 v[130:131], v[142:143], v[14:15]
	v_add_f64 v[132:133], v[12:13], -v[44:45]
	v_add_f64 v[32:33], v[2:3], -v[6:7]
	v_add_f64 v[2:3], v[138:139], v[2:3]
	v_add_f64 v[126:127], v[140:141], v[12:13]
	;; [unrolled: 1-line block ×4, first 2 shown]
	v_add_f64 v[38:39], v[38:39], -v[40:41]
	v_add_f64 v[14:15], v[42:43], v[46:47]
	v_add_f64 v[144:145], v[42:43], -v[46:47]
	v_fma_f64 v[34:35], v[34:35], -0.5, v[142:143]
	v_add_f64 v[42:43], v[162:163], v[42:43]
	v_add_f64 v[146:147], v[18:19], v[50:51]
	v_add_f64 v[138:139], v[18:19], -v[50:51]
	v_add_f64 v[140:141], v[166:167], v[18:19]
	v_fma_f64 v[18:19], v[124:125], s[0:1], v[22:23]
	v_add_f64 v[12:13], v[16:17], v[48:49]
	v_add_f64 v[2:3], v[2:3], v[6:7]
	;; [unrolled: 1-line block ×3, first 2 shown]
	v_add_f64 v[142:143], v[16:17], -v[48:49]
	v_fma_f64 v[16:17], v[32:33], s[2:3], v[20:21]
	v_add_f64 v[6:7], v[130:131], v[36:37]
	v_add_f64 v[28:29], v[134:135], v[40:41]
	v_fma_f64 v[158:159], v[0:1], -0.5, v[160:161]
	v_add_f64 v[0:1], v[26:27], v[4:5]
	v_fma_f64 v[162:163], v[14:15], -0.5, v[162:163]
	v_fma_f64 v[14:15], v[124:125], s[2:3], v[22:23]
	v_fma_f64 v[22:23], v[132:133], s[2:3], v[34:35]
	;; [unrolled: 1-line block ×3, first 2 shown]
	buffer_load_dword v132, off, s[60:63], 0 offset:36 ; 4-byte Folded Reload
	v_add_f64 v[4:5], v[126:127], v[44:45]
	v_add_f64 v[160:161], v[24:25], -v[122:123]
	v_fma_f64 v[24:25], v[128:129], s[2:3], v[30:31]
	v_fma_f64 v[164:165], v[12:13], -0.5, v[164:165]
	v_fma_f64 v[12:13], v[32:33], s[0:1], v[20:21]
	v_fma_f64 v[20:21], v[128:129], s[0:1], v[30:31]
	v_fma_f64 v[126:127], v[146:147], -0.5, v[166:167]
	v_fma_f64 v[146:147], v[152:153], -0.5, v[148:149]
	;; [unrolled: 1-line block ×3, first 2 shown]
	v_add_f64 v[30:31], v[42:43], v[46:47]
	v_add_f64 v[40:41], v[136:137], v[48:49]
	;; [unrolled: 1-line block ×4, first 2 shown]
	s_waitcnt vmcnt(0)
	ds_write_b128 v132, v[0:3]
	ds_write_b128 v132, v[12:15] offset:272
	ds_write_b128 v132, v[16:19] offset:544
	buffer_load_dword v0, off, s[60:63], 0 offset:40 ; 4-byte Folded Reload
	v_fma_f64 v[32:33], v[144:145], s[0:1], v[158:159]
	v_fma_f64 v[34:35], v[38:39], s[2:3], v[162:163]
	;; [unrolled: 1-line block ×12, first 2 shown]
	s_waitcnt vmcnt(0)
	ds_write_b128 v0, v[4:7]
	ds_write_b128 v0, v[20:23] offset:272
	ds_write_b128 v0, v[24:27] offset:544
	buffer_load_dword v0, off, s[60:63], 0 offset:32 ; 4-byte Folded Reload
	s_waitcnt vmcnt(0)
	ds_write_b128 v0, v[28:31]
	ds_write_b128 v0, v[32:35] offset:272
	ds_write_b128 v0, v[36:39] offset:544
	ds_write_b128 v226, v[40:43]
	ds_write_b128 v226, v[44:47] offset:272
	ds_write_b128 v226, v[48:51] offset:544
	;; [unrolled: 3-line block ×3, first 2 shown]
	s_waitcnt lgkmcnt(0)
	s_barrier
	buffer_gl0_inv
	ds_read_b128 v[0:3], v227 offset:4896
	ds_read_b128 v[4:7], v227 offset:7344
	;; [unrolled: 1-line block ×8, first 2 shown]
	s_waitcnt lgkmcnt(7)
	v_mul_f64 v[36:37], v[54:55], v[2:3]
	s_waitcnt lgkmcnt(6)
	v_mul_f64 v[38:39], v[58:59], v[6:7]
	s_waitcnt lgkmcnt(5)
	v_mul_f64 v[40:41], v[10:11], v[14:15]
	s_waitcnt lgkmcnt(4)
	v_mul_f64 v[42:43], v[62:63], v[18:19]
	v_mul_f64 v[44:45], v[54:55], v[0:1]
	v_mul_f64 v[46:47], v[58:59], v[4:5]
	;; [unrolled: 1-line block ×4, first 2 shown]
	s_waitcnt lgkmcnt(3)
	v_mul_f64 v[136:137], v[54:55], v[22:23]
	s_waitcnt lgkmcnt(2)
	v_mul_f64 v[144:145], v[62:63], v[26:27]
	v_mul_f64 v[54:55], v[54:55], v[20:21]
	;; [unrolled: 1-line block ×3, first 2 shown]
	s_waitcnt lgkmcnt(1)
	v_mul_f64 v[148:149], v[90:91], v[30:31]
	v_mul_f64 v[90:91], v[90:91], v[28:29]
	v_fma_f64 v[120:121], v[52:53], v[0:1], v[36:37]
	v_fma_f64 v[122:123], v[56:57], v[4:5], v[38:39]
	;; [unrolled: 1-line block ×4, first 2 shown]
	v_fma_f64 v[128:129], v[52:53], v[2:3], -v[44:45]
	v_fma_f64 v[130:131], v[56:57], v[6:7], -v[46:47]
	ds_read_b128 v[36:39], v227 offset:8160
	ds_read_b128 v[40:43], v227 offset:8976
	;; [unrolled: 1-line block ×4, first 2 shown]
	v_fma_f64 v[48:49], v[8:9], v[14:15], -v[48:49]
	v_fma_f64 v[50:51], v[60:61], v[18:19], -v[50:51]
	ds_read_b128 v[12:15], v227
	v_fma_f64 v[20:21], v[52:53], v[20:21], v[136:137]
	ds_read_b128 v[16:19], v227 offset:816
	ds_read_b128 v[44:47], v227 offset:11424
	v_fma_f64 v[24:25], v[60:61], v[24:25], v[144:145]
	v_fma_f64 v[22:23], v[52:53], v[22:23], -v[54:55]
	v_fma_f64 v[26:27], v[60:61], v[26:27], -v[62:63]
	;; [unrolled: 1-line block ×3, first 2 shown]
	v_fma_f64 v[28:29], v[88:89], v[28:29], v[148:149]
	s_waitcnt lgkmcnt(0)
	s_barrier
	buffer_gl0_inv
	v_add_f64 v[132:133], v[120:121], v[122:123]
	v_add_f64 v[52:53], v[120:121], -v[124:125]
	v_add_f64 v[134:135], v[124:125], v[126:127]
	v_mul_f64 v[138:139], v[58:59], v[38:39]
	v_add_f64 v[142:143], v[128:129], v[130:131]
	v_mul_f64 v[140:141], v[10:11], v[2:3]
	v_mul_f64 v[10:11], v[10:11], v[0:1]
	;; [unrolled: 1-line block ×4, first 2 shown]
	v_add_f64 v[152:153], v[12:13], v[124:125]
	v_add_f64 v[154:155], v[48:49], -v[50:51]
	v_add_f64 v[156:157], v[128:129], -v[130:131]
	v_mul_f64 v[94:95], v[94:95], v[4:5]
	v_add_f64 v[54:55], v[122:123], -v[126:127]
	v_mul_f64 v[150:151], v[86:87], v[42:43]
	v_mul_f64 v[86:87], v[86:87], v[40:41]
	v_add_f64 v[144:145], v[50:51], -v[130:131]
	v_fma_f64 v[132:133], v[132:133], -0.5, v[12:13]
	v_fma_f64 v[12:13], v[134:135], -0.5, v[12:13]
	v_fma_f64 v[36:37], v[56:57], v[36:37], v[138:139]
	v_add_f64 v[138:139], v[124:125], -v[126:127]
	v_fma_f64 v[136:137], v[8:9], v[0:1], v[140:141]
	v_add_f64 v[0:1], v[14:15], v[48:49]
	v_fma_f64 v[140:141], v[142:143], -0.5, v[14:15]
	v_fma_f64 v[142:143], v[8:9], v[2:3], -v[10:11]
	v_add_f64 v[8:9], v[48:49], v[50:51]
	v_fma_f64 v[38:39], v[56:57], v[38:39], -v[58:59]
	v_add_f64 v[2:3], v[124:125], -v[120:121]
	v_add_f64 v[10:11], v[126:127], -v[122:123]
	v_mul_f64 v[134:135], v[82:83], v[46:47]
	v_add_f64 v[56:57], v[152:153], v[120:121]
	v_mul_f64 v[82:83], v[82:83], v[44:45]
	v_fma_f64 v[40:41], v[84:85], v[40:41], v[150:151]
	v_fma_f64 v[42:43], v[84:85], v[42:43], -v[86:87]
	v_fma_f64 v[58:59], v[154:155], s[16:17], v[132:133]
	v_fma_f64 v[60:61], v[154:155], s[20:21], v[132:133]
	;; [unrolled: 1-line block ×4, first 2 shown]
	v_add_f64 v[124:125], v[20:21], v[36:37]
	v_fma_f64 v[132:133], v[92:93], v[4:5], v[146:147]
	v_add_f64 v[4:5], v[120:121], -v[122:123]
	v_add_f64 v[120:121], v[48:49], -v[128:129]
	v_add_f64 v[0:1], v[0:1], v[128:129]
	v_fma_f64 v[146:147], v[138:139], s[20:21], v[140:141]
	v_fma_f64 v[90:91], v[138:139], s[16:17], v[140:141]
	v_fma_f64 v[92:93], v[92:93], v[6:7], -v[94:95]
	v_add_f64 v[6:7], v[136:137], v[24:25]
	v_fma_f64 v[8:9], v[8:9], -0.5, v[14:15]
	v_add_f64 v[2:3], v[2:3], v[10:11]
	v_add_f64 v[10:11], v[52:53], v[54:55]
	;; [unrolled: 1-line block ×3, first 2 shown]
	v_add_f64 v[14:15], v[142:143], -v[26:27]
	v_add_f64 v[52:53], v[56:57], v[122:123]
	v_fma_f64 v[44:45], v[80:81], v[44:45], v[134:135]
	v_fma_f64 v[46:47], v[80:81], v[46:47], -v[82:83]
	v_add_f64 v[48:49], v[128:129], -v[48:49]
	v_fma_f64 v[54:55], v[156:157], s[10:11], v[58:59]
	v_fma_f64 v[56:57], v[156:157], s[18:19], v[60:61]
	;; [unrolled: 1-line block ×4, first 2 shown]
	v_fma_f64 v[62:63], v[124:125], -0.5, v[16:17]
	v_add_f64 v[124:125], v[22:23], v[38:39]
	v_add_f64 v[80:81], v[130:131], -v[50:51]
	v_add_f64 v[86:87], v[120:121], v[144:145]
	v_add_f64 v[84:85], v[0:1], v[130:131]
	v_fma_f64 v[94:95], v[4:5], s[18:19], v[146:147]
	v_fma_f64 v[82:83], v[4:5], s[10:11], v[90:91]
	v_add_f64 v[120:121], v[22:23], -v[38:39]
	v_fma_f64 v[122:123], v[6:7], -0.5, v[16:17]
	v_fma_f64 v[90:91], v[4:5], s[16:17], v[8:9]
	v_fma_f64 v[128:129], v[4:5], s[20:21], v[8:9]
	v_add_f64 v[130:131], v[136:137], -v[24:25]
	v_add_f64 v[88:89], v[88:89], v[20:21]
	v_add_f64 v[134:135], v[142:143], -v[22:23]
	v_add_f64 v[0:1], v[52:53], v[126:127]
	v_add_f64 v[126:127], v[36:37], -v[24:25]
	v_add_f64 v[140:141], v[38:39], -v[26:27]
	;; [unrolled: 1-line block ×3, first 2 shown]
	v_fma_f64 v[4:5], v[2:3], s[8:9], v[54:55]
	v_add_f64 v[54:55], v[142:143], v[26:27]
	v_fma_f64 v[8:9], v[2:3], s[8:9], v[56:57]
	v_fma_f64 v[12:13], v[10:11], s[8:9], v[58:59]
	;; [unrolled: 1-line block ×4, first 2 shown]
	v_add_f64 v[56:57], v[136:137], -v[20:21]
	v_add_f64 v[58:59], v[24:25], -v[36:37]
	v_add_f64 v[2:3], v[84:85], v[50:51]
	v_add_f64 v[50:51], v[28:29], v[40:41]
	v_fma_f64 v[6:7], v[86:87], s[8:9], v[94:95]
	v_fma_f64 v[60:61], v[14:15], s[20:21], v[62:63]
	v_add_f64 v[94:95], v[132:133], v[44:45]
	v_fma_f64 v[10:11], v[86:87], s[8:9], v[82:83]
	v_add_f64 v[86:87], v[30:31], v[42:43]
	v_fma_f64 v[62:63], v[120:121], s[20:21], v[122:123]
	v_add_f64 v[84:85], v[20:21], -v[136:137]
	v_fma_f64 v[82:83], v[138:139], s[18:19], v[90:91]
	v_fma_f64 v[90:91], v[124:125], -0.5, v[18:19]
	v_add_f64 v[124:125], v[92:93], v[46:47]
	v_add_f64 v[48:49], v[48:49], v[80:81]
	;; [unrolled: 1-line block ×3, first 2 shown]
	v_add_f64 v[20:21], v[20:21], -v[36:37]
	v_fma_f64 v[18:19], v[54:55], -0.5, v[18:19]
	v_add_f64 v[88:89], v[88:89], v[36:37]
	v_add_f64 v[54:55], v[32:33], v[132:133]
	v_add_f64 v[136:137], v[26:27], -v[38:39]
	v_fma_f64 v[36:37], v[120:121], s[10:11], v[52:53]
	v_fma_f64 v[128:129], v[138:139], s[10:11], v[128:129]
	v_add_f64 v[52:53], v[56:57], v[58:59]
	v_add_f64 v[56:57], v[92:93], -v[46:47]
	v_fma_f64 v[50:51], v[50:51], -0.5, v[32:33]
	v_add_f64 v[146:147], v[44:45], -v[40:41]
	v_fma_f64 v[58:59], v[120:121], s[18:19], v[60:61]
	v_fma_f64 v[32:33], v[94:95], -0.5, v[32:33]
	v_fma_f64 v[94:95], v[120:121], s[16:17], v[122:123]
	v_add_f64 v[120:121], v[34:35], v[92:93]
	v_fma_f64 v[86:87], v[86:87], -0.5, v[34:35]
	v_add_f64 v[122:123], v[132:133], -v[44:45]
	v_fma_f64 v[60:61], v[14:15], s[10:11], v[62:63]
	v_add_f64 v[62:63], v[30:31], -v[42:43]
	v_add_f64 v[84:85], v[84:85], v[126:127]
	v_add_f64 v[126:127], v[28:29], -v[40:41]
	v_fma_f64 v[34:35], v[124:125], -0.5, v[34:35]
	v_add_f64 v[80:81], v[80:81], v[22:23]
	v_fma_f64 v[124:125], v[130:131], s[20:21], v[90:91]
	v_fma_f64 v[138:139], v[20:21], s[16:17], v[18:19]
	v_add_f64 v[22:23], v[22:23], -v[142:143]
	v_fma_f64 v[18:19], v[20:21], s[20:21], v[18:19]
	v_fma_f64 v[90:91], v[130:131], s[16:17], v[90:91]
	v_add_f64 v[54:55], v[54:55], v[28:29]
	v_add_f64 v[152:153], v[92:93], -v[30:31]
	v_add_f64 v[154:155], v[46:47], -v[42:43]
	v_fma_f64 v[142:143], v[56:57], s[16:17], v[50:51]
	v_fma_f64 v[50:51], v[56:57], s[20:21], v[50:51]
	v_add_f64 v[28:29], v[28:29], -v[132:133]
	v_add_f64 v[132:133], v[40:41], -v[44:45]
	v_fma_f64 v[94:95], v[14:15], s[18:19], v[94:95]
	v_add_f64 v[120:121], v[120:121], v[30:31]
	v_add_f64 v[30:31], v[30:31], -v[92:93]
	v_fma_f64 v[150:151], v[122:123], s[20:21], v[86:87]
	v_add_f64 v[92:93], v[42:43], -v[46:47]
	v_fma_f64 v[148:149], v[62:63], s[20:21], v[32:33]
	v_fma_f64 v[32:33], v[62:63], s[16:17], v[32:33]
	;; [unrolled: 1-line block ×5, first 2 shown]
	v_add_f64 v[38:39], v[80:81], v[38:39]
	v_fma_f64 v[80:81], v[20:21], s[18:19], v[124:125]
	v_add_f64 v[124:125], v[134:135], v[136:137]
	v_fma_f64 v[134:135], v[130:131], s[18:19], v[138:139]
	;; [unrolled: 2-line block ×3, first 2 shown]
	v_fma_f64 v[90:91], v[20:21], s[10:11], v[90:91]
	v_add_f64 v[40:41], v[54:55], v[40:41]
	v_fma_f64 v[54:55], v[62:63], s[10:11], v[142:143]
	v_add_f64 v[138:139], v[144:145], v[146:147]
	v_add_f64 v[140:141], v[152:153], v[154:155]
	v_fma_f64 v[50:51], v[62:63], s[18:19], v[50:51]
	v_add_f64 v[132:133], v[28:29], v[132:133]
	v_add_f64 v[42:43], v[120:121], v[42:43]
	v_fma_f64 v[14:15], v[48:49], s[8:9], v[82:83]
	v_fma_f64 v[120:121], v[126:127], s[18:19], v[150:151]
	v_add_f64 v[92:93], v[30:31], v[92:93]
	v_fma_f64 v[62:63], v[56:57], s[10:11], v[148:149]
	v_fma_f64 v[56:57], v[56:57], s[18:19], v[32:33]
	;; [unrolled: 1-line block ×6, first 2 shown]
	v_add_f64 v[20:21], v[88:89], v[24:25]
	v_add_f64 v[22:23], v[38:39], v[26:27]
	v_fma_f64 v[24:25], v[52:53], s[8:9], v[36:37]
	v_fma_f64 v[26:27], v[124:125], s[8:9], v[80:81]
	;; [unrolled: 1-line block ×8, first 2 shown]
	v_add_f64 v[40:41], v[40:41], v[44:45]
	v_fma_f64 v[44:45], v[138:139], s[8:9], v[54:55]
	v_add_f64 v[42:43], v[42:43], v[46:47]
	v_fma_f64 v[48:49], v[138:139], s[8:9], v[50:51]
	v_fma_f64 v[46:47], v[140:141], s[8:9], v[120:121]
	;; [unrolled: 1-line block ×7, first 2 shown]
	ds_write_b128 v227, v[0:3]
	ds_write_b128 v227, v[4:7] offset:816
	ds_write_b128 v227, v[12:15] offset:1632
	;; [unrolled: 1-line block ×14, first 2 shown]
	s_waitcnt lgkmcnt(0)
	s_barrier
	buffer_gl0_inv
	ds_read_b128 v[0:3], v227 offset:4080
	ds_read_b128 v[4:7], v227 offset:8160
	;; [unrolled: 1-line block ×9, first 2 shown]
	s_waitcnt lgkmcnt(8)
	v_mul_f64 v[36:37], v[66:67], v[2:3]
	s_waitcnt lgkmcnt(7)
	v_mul_f64 v[38:39], v[78:79], v[6:7]
	v_mul_f64 v[40:41], v[66:67], v[0:1]
	;; [unrolled: 1-line block ×3, first 2 shown]
	s_waitcnt lgkmcnt(4)
	v_mul_f64 v[52:53], v[70:71], v[18:19]
	v_mul_f64 v[54:55], v[74:75], v[10:11]
	;; [unrolled: 1-line block ×4, first 2 shown]
	s_waitcnt lgkmcnt(3)
	v_mul_f64 v[60:61], v[102:103], v[22:23]
	v_mul_f64 v[62:63], v[102:103], v[20:21]
	s_waitcnt lgkmcnt(2)
	v_mul_f64 v[66:67], v[98:99], v[24:25]
	s_waitcnt lgkmcnt(1)
	v_mul_f64 v[70:71], v[110:111], v[30:31]
	v_mul_f64 v[74:75], v[110:111], v[28:29]
	s_waitcnt lgkmcnt(0)
	v_mul_f64 v[78:79], v[106:107], v[32:33]
	v_fma_f64 v[44:45], v[64:65], v[0:1], v[36:37]
	v_fma_f64 v[46:47], v[76:77], v[4:5], v[38:39]
	v_fma_f64 v[48:49], v[64:65], v[2:3], -v[40:41]
	v_fma_f64 v[50:51], v[76:77], v[6:7], -v[42:43]
	ds_read_b128 v[36:39], v227 offset:7344
	ds_read_b128 v[0:3], v227 offset:11424
	v_mul_f64 v[64:65], v[98:99], v[26:27]
	v_mul_f64 v[76:77], v[106:107], v[34:35]
	ds_read_b128 v[4:7], v227
	ds_read_b128 v[40:43], v227 offset:816
	v_fma_f64 v[52:53], v[68:69], v[16:17], v[52:53]
	v_fma_f64 v[54:55], v[72:73], v[8:9], v[54:55]
	v_fma_f64 v[56:57], v[68:69], v[18:19], -v[56:57]
	v_fma_f64 v[58:59], v[72:73], v[10:11], -v[58:59]
	v_fma_f64 v[60:61], v[100:101], v[20:21], v[60:61]
	v_fma_f64 v[62:63], v[100:101], v[22:23], -v[62:63]
	v_fma_f64 v[66:67], v[96:97], v[26:27], -v[66:67]
	;; [unrolled: 3-line block ×3, first 2 shown]
	v_add_f64 v[80:81], v[44:45], v[46:47]
	s_waitcnt lgkmcnt(3)
	v_mul_f64 v[82:83], v[118:119], v[38:39]
	s_waitcnt lgkmcnt(2)
	v_mul_f64 v[86:87], v[114:115], v[2:3]
	v_add_f64 v[84:85], v[48:49], v[50:51]
	v_mul_f64 v[88:89], v[118:119], v[36:37]
	v_mul_f64 v[16:17], v[114:115], v[0:1]
	v_fma_f64 v[64:65], v[96:97], v[24:25], v[64:65]
	v_fma_f64 v[68:69], v[104:105], v[32:33], v[76:77]
	s_waitcnt lgkmcnt(1)
	v_add_f64 v[8:9], v[4:5], v[44:45]
	v_add_f64 v[18:19], v[48:49], -v[50:51]
	v_add_f64 v[22:23], v[6:7], v[48:49]
	v_add_f64 v[32:33], v[44:45], -v[46:47]
	v_add_f64 v[44:45], v[56:57], v[58:59]
	v_add_f64 v[76:77], v[62:63], v[66:67]
	;; [unrolled: 1-line block ×3, first 2 shown]
	v_fma_f64 v[10:11], v[80:81], -0.5, v[4:5]
	v_fma_f64 v[30:31], v[116:117], v[36:37], v[82:83]
	v_fma_f64 v[48:49], v[112:113], v[0:1], v[86:87]
	v_fma_f64 v[24:25], v[84:85], -0.5, v[6:7]
	v_fma_f64 v[34:35], v[116:117], v[38:39], -v[88:89]
	v_fma_f64 v[72:73], v[112:113], v[2:3], -v[16:17]
	s_waitcnt lgkmcnt(0)
	v_add_f64 v[36:37], v[40:41], v[52:53]
	v_add_f64 v[38:39], v[52:53], v[54:55]
	;; [unrolled: 1-line block ×3, first 2 shown]
	ds_read_b128 v[0:3], v227 offset:1632
	ds_read_b128 v[4:7], v227 offset:2448
	v_add_f64 v[8:9], v[8:9], v[46:47]
	v_add_f64 v[46:47], v[26:27], v[68:69]
	v_add_f64 v[80:81], v[28:29], -v[70:71]
	v_add_f64 v[84:85], v[26:27], -v[68:69]
	v_fma_f64 v[16:17], v[18:19], s[0:1], v[10:11]
	v_fma_f64 v[20:21], v[18:19], s[2:3], v[10:11]
	v_add_f64 v[10:11], v[22:23], v[50:51]
	v_add_f64 v[50:51], v[30:31], v[48:49]
	v_fma_f64 v[18:19], v[32:33], s[2:3], v[24:25]
	v_fma_f64 v[22:23], v[32:33], s[0:1], v[24:25]
	v_add_f64 v[32:33], v[34:35], v[72:73]
	v_add_f64 v[24:25], v[36:37], v[54:55]
	v_fma_f64 v[36:37], v[38:39], -0.5, v[40:41]
	v_add_f64 v[40:41], v[42:43], v[56:57]
	v_add_f64 v[38:39], v[56:57], -v[58:59]
	v_fma_f64 v[42:43], v[44:45], -0.5, v[42:43]
	v_add_f64 v[44:45], v[52:53], -v[54:55]
	s_waitcnt lgkmcnt(1)
	v_add_f64 v[52:53], v[0:1], v[60:61]
	v_add_f64 v[56:57], v[62:63], -v[66:67]
	v_add_f64 v[62:63], v[2:3], v[62:63]
	v_fma_f64 v[54:55], v[74:75], -0.5, v[0:1]
	v_fma_f64 v[74:75], v[76:77], -0.5, v[2:3]
	v_add_f64 v[60:61], v[60:61], -v[64:65]
	s_waitcnt lgkmcnt(0)
	v_add_f64 v[76:77], v[4:5], v[26:27]
	v_add_f64 v[82:83], v[6:7], v[28:29]
	v_fma_f64 v[46:47], v[46:47], -0.5, v[4:5]
	v_fma_f64 v[78:79], v[78:79], -0.5, v[6:7]
	v_add_f64 v[86:87], v[12:13], v[30:31]
	v_add_f64 v[88:89], v[34:35], -v[72:73]
	v_fma_f64 v[50:51], v[50:51], -0.5, v[12:13]
	v_add_f64 v[90:91], v[14:15], v[34:35]
	v_add_f64 v[94:95], v[30:31], -v[48:49]
	v_fma_f64 v[92:93], v[32:33], -0.5, v[14:15]
	v_add_f64 v[26:27], v[40:41], v[58:59]
	v_fma_f64 v[0:1], v[38:39], s[0:1], v[36:37]
	v_fma_f64 v[4:5], v[38:39], s[2:3], v[36:37]
	v_fma_f64 v[2:3], v[44:45], s[2:3], v[42:43]
	v_fma_f64 v[6:7], v[44:45], s[0:1], v[42:43]
	v_add_f64 v[12:13], v[52:53], v[64:65]
	v_add_f64 v[14:15], v[62:63], v[66:67]
	v_fma_f64 v[28:29], v[56:57], s[0:1], v[54:55]
	v_fma_f64 v[32:33], v[56:57], s[2:3], v[54:55]
	v_fma_f64 v[30:31], v[60:61], s[2:3], v[74:75]
	v_fma_f64 v[34:35], v[60:61], s[0:1], v[74:75]
	v_add_f64 v[36:37], v[76:77], v[68:69]
	;; [unrolled: 6-line block ×3, first 2 shown]
	v_fma_f64 v[52:53], v[88:89], s[0:1], v[50:51]
	v_fma_f64 v[56:57], v[88:89], s[2:3], v[50:51]
	v_add_f64 v[50:51], v[90:91], v[72:73]
	v_fma_f64 v[54:55], v[94:95], s[2:3], v[92:93]
	v_fma_f64 v[58:59], v[94:95], s[0:1], v[92:93]
	ds_write_b128 v235, v[8:11]
	ds_write_b128 v235, v[16:19] offset:4080
	ds_write_b128 v235, v[20:23] offset:8160
	;; [unrolled: 1-line block ×14, first 2 shown]
	s_waitcnt lgkmcnt(0)
	s_barrier
	buffer_gl0_inv
	s_and_b32 exec_lo, exec_lo, vcc_lo
	s_cbranch_execz .LBB0_15
; %bb.14:
	global_load_dwordx4 v[1:4], v234, s[12:13]
	ds_read_b128 v[5:8], v235
	v_mad_u64_u32 v[15:16], null, s6, v196, 0
	s_mov_b32 s0, 0x156ac015
	buffer_load_dword v0, off, s[60:63], 0 offset:44 ; 4-byte Folded Reload
	s_mov_b32 s1, 0x3f556ac0
	s_mul_i32 s2, s5, 0x2d0
	s_mul_i32 s3, s4, 0x2d0
	s_waitcnt vmcnt(1) lgkmcnt(0)
	v_mul_f64 v[13:14], v[7:8], v[3:4]
	v_mul_f64 v[3:4], v[5:6], v[3:4]
	s_waitcnt vmcnt(0)
	v_lshl_add_u32 v0, v232, 4, v0
	ds_read_b128 v[9:12], v0 offset:720
	v_fma_f64 v[5:6], v[5:6], v[1:2], v[13:14]
	v_fma_f64 v[3:4], v[1:2], v[7:8], -v[3:4]
	v_mad_u64_u32 v[7:8], null, s4, v224, 0
	v_mov_b32_e32 v1, v16
	v_mov_b32_e32 v2, v8
	v_mad_u64_u32 v[13:14], null, s7, v196, v[1:2]
	v_mov_b32_e32 v16, v13
	v_mad_u64_u32 v[17:18], null, s5, v224, v[2:3]
	v_mul_f64 v[1:2], v[5:6], s[0:1]
	v_mul_f64 v[3:4], v[3:4], s[0:1]
	v_lshlrev_b64 v[5:6], 4, v[15:16]
	s_mul_hi_u32 s5, s4, 0x2d0
	v_add_co_u32 v19, s4, s12, v234
	v_mov_b32_e32 v8, v17
	s_add_i32 s2, s5, s2
	v_add_co_u32 v5, vcc_lo, s14, v5
	v_add_co_ci_u32_e32 v6, vcc_lo, s15, v6, vcc_lo
	v_lshlrev_b64 v[7:8], 4, v[7:8]
	v_add_co_ci_u32_e64 v20, null, s13, 0, s4
	v_add_co_u32 v5, vcc_lo, v5, v7
	v_add_co_ci_u32_e32 v6, vcc_lo, v6, v8, vcc_lo
	v_add_co_u32 v13, vcc_lo, v5, s3
	global_store_dwordx4 v[5:6], v[1:4], off
	global_load_dwordx4 v[1:4], v234, s[12:13] offset:720
	v_add_co_ci_u32_e32 v14, vcc_lo, s2, v6, vcc_lo
	s_waitcnt vmcnt(0) lgkmcnt(0)
	v_mul_f64 v[7:8], v[11:12], v[3:4]
	v_mul_f64 v[3:4], v[9:10], v[3:4]
	v_fma_f64 v[7:8], v[9:10], v[1:2], v[7:8]
	v_fma_f64 v[3:4], v[1:2], v[11:12], -v[3:4]
	v_mul_f64 v[1:2], v[7:8], s[0:1]
	v_mul_f64 v[3:4], v[3:4], s[0:1]
	global_store_dwordx4 v[13:14], v[1:4], off
	global_load_dwordx4 v[1:4], v234, s[12:13] offset:1440
	ds_read_b128 v[5:8], v0 offset:1440
	ds_read_b128 v[9:12], v0 offset:2160
	s_waitcnt vmcnt(0) lgkmcnt(1)
	v_mul_f64 v[15:16], v[7:8], v[3:4]
	v_mul_f64 v[3:4], v[5:6], v[3:4]
	v_fma_f64 v[5:6], v[5:6], v[1:2], v[15:16]
	v_fma_f64 v[3:4], v[1:2], v[7:8], -v[3:4]
	v_mul_f64 v[1:2], v[5:6], s[0:1]
	v_mul_f64 v[3:4], v[3:4], s[0:1]
	v_add_co_u32 v5, vcc_lo, v13, s3
	v_add_co_ci_u32_e32 v6, vcc_lo, s2, v14, vcc_lo
	v_add_co_u32 v13, vcc_lo, 0x800, v19
	v_add_co_ci_u32_e32 v14, vcc_lo, 0, v20, vcc_lo
	;; [unrolled: 2-line block ×3, first 2 shown]
	global_store_dwordx4 v[5:6], v[1:4], off
	global_load_dwordx4 v[1:4], v[13:14], off offset:112
	s_waitcnt vmcnt(0) lgkmcnt(0)
	v_mul_f64 v[7:8], v[11:12], v[3:4]
	v_mul_f64 v[3:4], v[9:10], v[3:4]
	v_fma_f64 v[7:8], v[9:10], v[1:2], v[7:8]
	v_fma_f64 v[3:4], v[1:2], v[11:12], -v[3:4]
	v_mul_f64 v[1:2], v[7:8], s[0:1]
	v_mul_f64 v[3:4], v[3:4], s[0:1]
	global_store_dwordx4 v[15:16], v[1:4], off
	global_load_dwordx4 v[1:4], v[13:14], off offset:832
	ds_read_b128 v[5:8], v0 offset:2880
	ds_read_b128 v[9:12], v0 offset:3600
	s_waitcnt vmcnt(0) lgkmcnt(1)
	v_mul_f64 v[17:18], v[7:8], v[3:4]
	v_mul_f64 v[3:4], v[5:6], v[3:4]
	v_fma_f64 v[5:6], v[5:6], v[1:2], v[17:18]
	v_fma_f64 v[3:4], v[1:2], v[7:8], -v[3:4]
	v_mul_f64 v[1:2], v[5:6], s[0:1]
	v_mul_f64 v[3:4], v[3:4], s[0:1]
	v_add_co_u32 v5, vcc_lo, v15, s3
	v_add_co_ci_u32_e32 v6, vcc_lo, s2, v16, vcc_lo
	global_store_dwordx4 v[5:6], v[1:4], off
	global_load_dwordx4 v[1:4], v[13:14], off offset:1552
	v_add_co_u32 v13, vcc_lo, v5, s3
	v_add_co_ci_u32_e32 v14, vcc_lo, s2, v6, vcc_lo
	v_add_co_u32 v15, vcc_lo, 0x1000, v19
	v_add_co_ci_u32_e32 v16, vcc_lo, 0, v20, vcc_lo
	s_waitcnt vmcnt(0) lgkmcnt(0)
	v_mul_f64 v[7:8], v[11:12], v[3:4]
	v_mul_f64 v[3:4], v[9:10], v[3:4]
	v_fma_f64 v[7:8], v[9:10], v[1:2], v[7:8]
	v_fma_f64 v[3:4], v[1:2], v[11:12], -v[3:4]
	v_mul_f64 v[1:2], v[7:8], s[0:1]
	v_mul_f64 v[3:4], v[3:4], s[0:1]
	global_store_dwordx4 v[13:14], v[1:4], off
	global_load_dwordx4 v[1:4], v[15:16], off offset:224
	ds_read_b128 v[5:8], v0 offset:4320
	ds_read_b128 v[9:12], v0 offset:5040
	s_waitcnt vmcnt(0) lgkmcnt(1)
	v_mul_f64 v[17:18], v[7:8], v[3:4]
	v_mul_f64 v[3:4], v[5:6], v[3:4]
	v_fma_f64 v[5:6], v[5:6], v[1:2], v[17:18]
	v_fma_f64 v[3:4], v[1:2], v[7:8], -v[3:4]
	v_mul_f64 v[1:2], v[5:6], s[0:1]
	v_mul_f64 v[3:4], v[3:4], s[0:1]
	v_add_co_u32 v5, vcc_lo, v13, s3
	v_add_co_ci_u32_e32 v6, vcc_lo, s2, v14, vcc_lo
	v_add_co_u32 v13, vcc_lo, v5, s3
	v_add_co_ci_u32_e32 v14, vcc_lo, s2, v6, vcc_lo
	global_store_dwordx4 v[5:6], v[1:4], off
	global_load_dwordx4 v[1:4], v[15:16], off offset:944
	s_waitcnt vmcnt(0) lgkmcnt(0)
	v_mul_f64 v[7:8], v[11:12], v[3:4]
	v_mul_f64 v[3:4], v[9:10], v[3:4]
	v_fma_f64 v[7:8], v[9:10], v[1:2], v[7:8]
	v_fma_f64 v[3:4], v[1:2], v[11:12], -v[3:4]
	v_mul_f64 v[1:2], v[7:8], s[0:1]
	v_mul_f64 v[3:4], v[3:4], s[0:1]
	global_store_dwordx4 v[13:14], v[1:4], off
	global_load_dwordx4 v[1:4], v[15:16], off offset:1664
	ds_read_b128 v[5:8], v0 offset:5760
	ds_read_b128 v[9:12], v0 offset:6480
	s_waitcnt vmcnt(0) lgkmcnt(1)
	v_mul_f64 v[15:16], v[7:8], v[3:4]
	v_mul_f64 v[3:4], v[5:6], v[3:4]
	v_fma_f64 v[5:6], v[5:6], v[1:2], v[15:16]
	v_fma_f64 v[3:4], v[1:2], v[7:8], -v[3:4]
	v_mul_f64 v[1:2], v[5:6], s[0:1]
	v_mul_f64 v[3:4], v[3:4], s[0:1]
	v_add_co_u32 v5, vcc_lo, v13, s3
	v_add_co_ci_u32_e32 v6, vcc_lo, s2, v14, vcc_lo
	v_add_co_u32 v13, vcc_lo, 0x1800, v19
	v_add_co_ci_u32_e32 v14, vcc_lo, 0, v20, vcc_lo
	;; [unrolled: 2-line block ×3, first 2 shown]
	global_store_dwordx4 v[5:6], v[1:4], off
	global_load_dwordx4 v[1:4], v[13:14], off offset:336
	s_waitcnt vmcnt(0) lgkmcnt(0)
	v_mul_f64 v[7:8], v[11:12], v[3:4]
	v_mul_f64 v[3:4], v[9:10], v[3:4]
	v_fma_f64 v[7:8], v[9:10], v[1:2], v[7:8]
	v_fma_f64 v[3:4], v[1:2], v[11:12], -v[3:4]
	v_mul_f64 v[1:2], v[7:8], s[0:1]
	v_mul_f64 v[3:4], v[3:4], s[0:1]
	global_store_dwordx4 v[15:16], v[1:4], off
	global_load_dwordx4 v[1:4], v[13:14], off offset:1056
	ds_read_b128 v[5:8], v0 offset:7200
	ds_read_b128 v[9:12], v0 offset:7920
	s_waitcnt vmcnt(0) lgkmcnt(1)
	v_mul_f64 v[17:18], v[7:8], v[3:4]
	v_mul_f64 v[3:4], v[5:6], v[3:4]
	v_fma_f64 v[5:6], v[5:6], v[1:2], v[17:18]
	v_fma_f64 v[3:4], v[1:2], v[7:8], -v[3:4]
	v_mul_f64 v[1:2], v[5:6], s[0:1]
	v_mul_f64 v[3:4], v[3:4], s[0:1]
	v_add_co_u32 v5, vcc_lo, v15, s3
	v_add_co_ci_u32_e32 v6, vcc_lo, s2, v16, vcc_lo
	global_store_dwordx4 v[5:6], v[1:4], off
	global_load_dwordx4 v[1:4], v[13:14], off offset:1776
	v_add_co_u32 v13, vcc_lo, v5, s3
	v_add_co_ci_u32_e32 v14, vcc_lo, s2, v6, vcc_lo
	v_add_co_u32 v15, vcc_lo, 0x2000, v19
	v_add_co_ci_u32_e32 v16, vcc_lo, 0, v20, vcc_lo
	s_waitcnt vmcnt(0) lgkmcnt(0)
	v_mul_f64 v[7:8], v[11:12], v[3:4]
	v_mul_f64 v[3:4], v[9:10], v[3:4]
	v_fma_f64 v[7:8], v[9:10], v[1:2], v[7:8]
	v_fma_f64 v[3:4], v[1:2], v[11:12], -v[3:4]
	v_mul_f64 v[1:2], v[7:8], s[0:1]
	v_mul_f64 v[3:4], v[3:4], s[0:1]
	global_store_dwordx4 v[13:14], v[1:4], off
	global_load_dwordx4 v[1:4], v[15:16], off offset:448
	ds_read_b128 v[5:8], v0 offset:8640
	ds_read_b128 v[9:12], v0 offset:9360
	s_waitcnt vmcnt(0) lgkmcnt(1)
	v_mul_f64 v[17:18], v[7:8], v[3:4]
	v_mul_f64 v[3:4], v[5:6], v[3:4]
	v_fma_f64 v[5:6], v[5:6], v[1:2], v[17:18]
	v_fma_f64 v[3:4], v[1:2], v[7:8], -v[3:4]
	v_mul_f64 v[1:2], v[5:6], s[0:1]
	v_mul_f64 v[3:4], v[3:4], s[0:1]
	v_add_co_u32 v5, vcc_lo, v13, s3
	v_add_co_ci_u32_e32 v6, vcc_lo, s2, v14, vcc_lo
	v_add_co_u32 v13, vcc_lo, v5, s3
	v_add_co_ci_u32_e32 v14, vcc_lo, s2, v6, vcc_lo
	global_store_dwordx4 v[5:6], v[1:4], off
	global_load_dwordx4 v[1:4], v[15:16], off offset:1168
	s_waitcnt vmcnt(0) lgkmcnt(0)
	v_mul_f64 v[7:8], v[11:12], v[3:4]
	v_mul_f64 v[3:4], v[9:10], v[3:4]
	v_fma_f64 v[7:8], v[9:10], v[1:2], v[7:8]
	v_fma_f64 v[3:4], v[1:2], v[11:12], -v[3:4]
	v_mul_f64 v[1:2], v[7:8], s[0:1]
	v_mul_f64 v[3:4], v[3:4], s[0:1]
	global_store_dwordx4 v[13:14], v[1:4], off
	global_load_dwordx4 v[1:4], v[15:16], off offset:1888
	ds_read_b128 v[5:8], v0 offset:10080
	ds_read_b128 v[9:12], v0 offset:10800
	s_waitcnt vmcnt(0) lgkmcnt(1)
	v_mul_f64 v[15:16], v[7:8], v[3:4]
	v_mul_f64 v[3:4], v[5:6], v[3:4]
	v_fma_f64 v[5:6], v[5:6], v[1:2], v[15:16]
	v_fma_f64 v[3:4], v[1:2], v[7:8], -v[3:4]
	v_mul_f64 v[1:2], v[5:6], s[0:1]
	v_mul_f64 v[3:4], v[3:4], s[0:1]
	v_add_co_u32 v5, vcc_lo, v13, s3
	v_add_co_ci_u32_e32 v6, vcc_lo, s2, v14, vcc_lo
	v_add_co_u32 v7, vcc_lo, 0x2800, v19
	v_add_co_ci_u32_e32 v8, vcc_lo, 0, v20, vcc_lo
	global_store_dwordx4 v[5:6], v[1:4], off
	global_load_dwordx4 v[1:4], v[7:8], off offset:560
	s_waitcnt vmcnt(0) lgkmcnt(0)
	v_mul_f64 v[13:14], v[11:12], v[3:4]
	v_mul_f64 v[3:4], v[9:10], v[3:4]
	v_fma_f64 v[9:10], v[9:10], v[1:2], v[13:14]
	v_fma_f64 v[3:4], v[1:2], v[11:12], -v[3:4]
	v_mul_f64 v[1:2], v[9:10], s[0:1]
	v_mul_f64 v[3:4], v[3:4], s[0:1]
	v_add_co_u32 v9, vcc_lo, v5, s3
	v_add_co_ci_u32_e32 v10, vcc_lo, s2, v6, vcc_lo
	global_store_dwordx4 v[9:10], v[1:4], off
	global_load_dwordx4 v[1:4], v[7:8], off offset:1280
	ds_read_b128 v[5:8], v0 offset:11520
	s_waitcnt vmcnt(0) lgkmcnt(0)
	v_mul_f64 v[11:12], v[7:8], v[3:4]
	v_mul_f64 v[3:4], v[5:6], v[3:4]
	v_fma_f64 v[5:6], v[5:6], v[1:2], v[11:12]
	v_fma_f64 v[2:3], v[1:2], v[7:8], -v[3:4]
	v_add_co_u32 v4, vcc_lo, v9, s3
	v_mul_f64 v[0:1], v[5:6], s[0:1]
	v_mul_f64 v[2:3], v[2:3], s[0:1]
	v_add_co_ci_u32_e32 v5, vcc_lo, s2, v10, vcc_lo
	global_store_dwordx4 v[4:5], v[0:3], off
.LBB0_15:
	s_endpgm
	.section	.rodata,"a",@progbits
	.p2align	6, 0x0
	.amdhsa_kernel bluestein_single_back_len765_dim1_dp_op_CI_CI
		.amdhsa_group_segment_fixed_size 61200
		.amdhsa_private_segment_fixed_size 92
		.amdhsa_kernarg_size 104
		.amdhsa_user_sgpr_count 6
		.amdhsa_user_sgpr_private_segment_buffer 1
		.amdhsa_user_sgpr_dispatch_ptr 0
		.amdhsa_user_sgpr_queue_ptr 0
		.amdhsa_user_sgpr_kernarg_segment_ptr 1
		.amdhsa_user_sgpr_dispatch_id 0
		.amdhsa_user_sgpr_flat_scratch_init 0
		.amdhsa_user_sgpr_private_segment_size 0
		.amdhsa_wavefront_size32 1
		.amdhsa_uses_dynamic_stack 0
		.amdhsa_system_sgpr_private_segment_wavefront_offset 1
		.amdhsa_system_sgpr_workgroup_id_x 1
		.amdhsa_system_sgpr_workgroup_id_y 0
		.amdhsa_system_sgpr_workgroup_id_z 0
		.amdhsa_system_sgpr_workgroup_info 0
		.amdhsa_system_vgpr_workitem_id 0
		.amdhsa_next_free_vgpr 256
		.amdhsa_next_free_sgpr 64
		.amdhsa_reserve_vcc 1
		.amdhsa_reserve_flat_scratch 0
		.amdhsa_float_round_mode_32 0
		.amdhsa_float_round_mode_16_64 0
		.amdhsa_float_denorm_mode_32 3
		.amdhsa_float_denorm_mode_16_64 3
		.amdhsa_dx10_clamp 1
		.amdhsa_ieee_mode 1
		.amdhsa_fp16_overflow 0
		.amdhsa_workgroup_processor_mode 1
		.amdhsa_memory_ordered 1
		.amdhsa_forward_progress 0
		.amdhsa_shared_vgpr_count 0
		.amdhsa_exception_fp_ieee_invalid_op 0
		.amdhsa_exception_fp_denorm_src 0
		.amdhsa_exception_fp_ieee_div_zero 0
		.amdhsa_exception_fp_ieee_overflow 0
		.amdhsa_exception_fp_ieee_underflow 0
		.amdhsa_exception_fp_ieee_inexact 0
		.amdhsa_exception_int_div_zero 0
	.end_amdhsa_kernel
	.text
.Lfunc_end0:
	.size	bluestein_single_back_len765_dim1_dp_op_CI_CI, .Lfunc_end0-bluestein_single_back_len765_dim1_dp_op_CI_CI
                                        ; -- End function
	.section	.AMDGPU.csdata,"",@progbits
; Kernel info:
; codeLenInByte = 28320
; NumSgprs: 66
; NumVgprs: 256
; ScratchSize: 92
; MemoryBound: 0
; FloatMode: 240
; IeeeMode: 1
; LDSByteSize: 61200 bytes/workgroup (compile time only)
; SGPRBlocks: 8
; VGPRBlocks: 31
; NumSGPRsForWavesPerEU: 66
; NumVGPRsForWavesPerEU: 256
; Occupancy: 4
; WaveLimiterHint : 1
; COMPUTE_PGM_RSRC2:SCRATCH_EN: 1
; COMPUTE_PGM_RSRC2:USER_SGPR: 6
; COMPUTE_PGM_RSRC2:TRAP_HANDLER: 0
; COMPUTE_PGM_RSRC2:TGID_X_EN: 1
; COMPUTE_PGM_RSRC2:TGID_Y_EN: 0
; COMPUTE_PGM_RSRC2:TGID_Z_EN: 0
; COMPUTE_PGM_RSRC2:TIDIG_COMP_CNT: 0
	.text
	.p2alignl 6, 3214868480
	.fill 48, 4, 3214868480
	.type	__hip_cuid_179fcffc01dc5299,@object ; @__hip_cuid_179fcffc01dc5299
	.section	.bss,"aw",@nobits
	.globl	__hip_cuid_179fcffc01dc5299
__hip_cuid_179fcffc01dc5299:
	.byte	0                               ; 0x0
	.size	__hip_cuid_179fcffc01dc5299, 1

	.ident	"AMD clang version 19.0.0git (https://github.com/RadeonOpenCompute/llvm-project roc-6.4.0 25133 c7fe45cf4b819c5991fe208aaa96edf142730f1d)"
	.section	".note.GNU-stack","",@progbits
	.addrsig
	.addrsig_sym __hip_cuid_179fcffc01dc5299
	.amdgpu_metadata
---
amdhsa.kernels:
  - .args:
      - .actual_access:  read_only
        .address_space:  global
        .offset:         0
        .size:           8
        .value_kind:     global_buffer
      - .actual_access:  read_only
        .address_space:  global
        .offset:         8
        .size:           8
        .value_kind:     global_buffer
      - .actual_access:  read_only
        .address_space:  global
        .offset:         16
        .size:           8
        .value_kind:     global_buffer
      - .actual_access:  read_only
        .address_space:  global
        .offset:         24
        .size:           8
        .value_kind:     global_buffer
      - .actual_access:  read_only
        .address_space:  global
        .offset:         32
        .size:           8
        .value_kind:     global_buffer
      - .offset:         40
        .size:           8
        .value_kind:     by_value
      - .address_space:  global
        .offset:         48
        .size:           8
        .value_kind:     global_buffer
      - .address_space:  global
        .offset:         56
        .size:           8
        .value_kind:     global_buffer
      - .address_space:  global
        .offset:         64
        .size:           8
        .value_kind:     global_buffer
      - .address_space:  global
        .offset:         72
        .size:           8
        .value_kind:     global_buffer
      - .offset:         80
        .size:           4
        .value_kind:     by_value
      - .address_space:  global
        .offset:         88
        .size:           8
        .value_kind:     global_buffer
      - .address_space:  global
        .offset:         96
        .size:           8
        .value_kind:     global_buffer
    .group_segment_fixed_size: 61200
    .kernarg_segment_align: 8
    .kernarg_segment_size: 104
    .language:       OpenCL C
    .language_version:
      - 2
      - 0
    .max_flat_workgroup_size: 255
    .name:           bluestein_single_back_len765_dim1_dp_op_CI_CI
    .private_segment_fixed_size: 92
    .sgpr_count:     66
    .sgpr_spill_count: 0
    .symbol:         bluestein_single_back_len765_dim1_dp_op_CI_CI.kd
    .uniform_work_group_size: 1
    .uses_dynamic_stack: false
    .vgpr_count:     256
    .vgpr_spill_count: 23
    .wavefront_size: 32
    .workgroup_processor_mode: 1
amdhsa.target:   amdgcn-amd-amdhsa--gfx1030
amdhsa.version:
  - 1
  - 2
...

	.end_amdgpu_metadata
